;; amdgpu-corpus repo=ROCm/rocFFT kind=compiled arch=gfx906 opt=O3
	.text
	.amdgcn_target "amdgcn-amd-amdhsa--gfx906"
	.amdhsa_code_object_version 6
	.protected	fft_rtc_fwd_len884_factors_13_4_17_wgs_204_tpt_68_halfLds_sp_op_CI_CI_unitstride_sbrr_dirReg ; -- Begin function fft_rtc_fwd_len884_factors_13_4_17_wgs_204_tpt_68_halfLds_sp_op_CI_CI_unitstride_sbrr_dirReg
	.globl	fft_rtc_fwd_len884_factors_13_4_17_wgs_204_tpt_68_halfLds_sp_op_CI_CI_unitstride_sbrr_dirReg
	.p2align	8
	.type	fft_rtc_fwd_len884_factors_13_4_17_wgs_204_tpt_68_halfLds_sp_op_CI_CI_unitstride_sbrr_dirReg,@function
fft_rtc_fwd_len884_factors_13_4_17_wgs_204_tpt_68_halfLds_sp_op_CI_CI_unitstride_sbrr_dirReg: ; @fft_rtc_fwd_len884_factors_13_4_17_wgs_204_tpt_68_halfLds_sp_op_CI_CI_unitstride_sbrr_dirReg
; %bb.0:
	v_mul_u32_u24_e32 v1, 0x3c4, v0
	s_load_dwordx4 s[8:11], s[4:5], 0x58
	s_load_dwordx4 s[12:15], s[4:5], 0x0
	;; [unrolled: 1-line block ×3, first 2 shown]
	v_lshrrev_b32_e32 v1, 16, v1
	v_mad_u64_u32 v[31:32], s[0:1], s6, 3, v[1:2]
	v_mov_b32_e32 v1, 0
	s_waitcnt lgkmcnt(0)
	v_cmp_lt_u64_e64 s[0:1], s[14:15], 2
	v_mov_b32_e32 v33, 0
	v_mov_b32_e32 v32, v1
	;; [unrolled: 1-line block ×5, first 2 shown]
	s_and_b64 vcc, exec, s[0:1]
	v_mov_b32_e32 v17, v34
	v_mov_b32_e32 v20, v32
	s_cbranch_vccnz .LBB0_8
; %bb.1:
	s_load_dwordx2 s[0:1], s[4:5], 0x10
	s_add_u32 s2, s18, 8
	s_addc_u32 s3, s19, 0
	s_add_u32 s6, s16, 8
	s_addc_u32 s7, s17, 0
	v_mov_b32_e32 v33, 0
	s_waitcnt lgkmcnt(0)
	s_add_u32 s20, s0, 8
	v_mov_b32_e32 v34, 0
	v_mov_b32_e32 v16, v33
	;; [unrolled: 1-line block ×3, first 2 shown]
	s_addc_u32 s21, s1, 0
	s_mov_b64 s[22:23], 1
	v_mov_b32_e32 v17, v34
	v_mov_b32_e32 v4, v32
.LBB0_2:                                ; =>This Inner Loop Header: Depth=1
	s_load_dwordx2 s[24:25], s[20:21], 0x0
                                        ; implicit-def: $vgpr19_vgpr20
	s_waitcnt lgkmcnt(0)
	v_or_b32_e32 v2, s25, v4
	v_cmp_ne_u64_e32 vcc, 0, v[1:2]
	s_and_saveexec_b64 s[0:1], vcc
	s_xor_b64 s[26:27], exec, s[0:1]
	s_cbranch_execz .LBB0_4
; %bb.3:                                ;   in Loop: Header=BB0_2 Depth=1
	v_cvt_f32_u32_e32 v2, s24
	v_cvt_f32_u32_e32 v5, s25
	s_sub_u32 s0, 0, s24
	s_subb_u32 s1, 0, s25
	v_mac_f32_e32 v2, 0x4f800000, v5
	v_rcp_f32_e32 v2, v2
	v_mul_f32_e32 v2, 0x5f7ffffc, v2
	v_mul_f32_e32 v5, 0x2f800000, v2
	v_trunc_f32_e32 v5, v5
	v_mac_f32_e32 v2, 0xcf800000, v5
	v_cvt_u32_f32_e32 v5, v5
	v_cvt_u32_f32_e32 v2, v2
	v_mul_lo_u32 v6, s0, v5
	v_mul_hi_u32 v7, s0, v2
	v_mul_lo_u32 v9, s1, v2
	v_mul_lo_u32 v8, s0, v2
	v_add_u32_e32 v6, v7, v6
	v_add_u32_e32 v6, v6, v9
	v_mul_hi_u32 v7, v2, v8
	v_mul_lo_u32 v9, v2, v6
	v_mul_hi_u32 v11, v2, v6
	v_mul_hi_u32 v10, v5, v8
	v_mul_lo_u32 v8, v5, v8
	v_mul_hi_u32 v12, v5, v6
	v_add_co_u32_e32 v7, vcc, v7, v9
	v_addc_co_u32_e32 v9, vcc, 0, v11, vcc
	v_mul_lo_u32 v6, v5, v6
	v_add_co_u32_e32 v7, vcc, v7, v8
	v_addc_co_u32_e32 v7, vcc, v9, v10, vcc
	v_addc_co_u32_e32 v8, vcc, 0, v12, vcc
	v_add_co_u32_e32 v6, vcc, v7, v6
	v_addc_co_u32_e32 v7, vcc, 0, v8, vcc
	v_add_co_u32_e32 v2, vcc, v2, v6
	v_addc_co_u32_e32 v5, vcc, v5, v7, vcc
	v_mul_lo_u32 v6, s0, v5
	v_mul_hi_u32 v7, s0, v2
	v_mul_lo_u32 v8, s1, v2
	v_mul_lo_u32 v9, s0, v2
	v_add_u32_e32 v6, v7, v6
	v_add_u32_e32 v6, v6, v8
	v_mul_lo_u32 v10, v2, v6
	v_mul_hi_u32 v11, v2, v9
	v_mul_hi_u32 v12, v2, v6
	;; [unrolled: 1-line block ×3, first 2 shown]
	v_mul_lo_u32 v9, v5, v9
	v_mul_hi_u32 v7, v5, v6
	v_add_co_u32_e32 v10, vcc, v11, v10
	v_addc_co_u32_e32 v11, vcc, 0, v12, vcc
	v_mul_lo_u32 v6, v5, v6
	v_add_co_u32_e32 v9, vcc, v10, v9
	v_addc_co_u32_e32 v8, vcc, v11, v8, vcc
	v_addc_co_u32_e32 v7, vcc, 0, v7, vcc
	v_add_co_u32_e32 v6, vcc, v8, v6
	v_addc_co_u32_e32 v7, vcc, 0, v7, vcc
	v_add_co_u32_e32 v2, vcc, v2, v6
	v_addc_co_u32_e32 v7, vcc, v5, v7, vcc
	v_mad_u64_u32 v[5:6], s[0:1], v3, v7, 0
	v_mul_hi_u32 v8, v3, v2
	v_add_co_u32_e32 v9, vcc, v8, v5
	v_addc_co_u32_e32 v10, vcc, 0, v6, vcc
	v_mad_u64_u32 v[5:6], s[0:1], v4, v2, 0
	v_mad_u64_u32 v[7:8], s[0:1], v4, v7, 0
	v_add_co_u32_e32 v2, vcc, v9, v5
	v_addc_co_u32_e32 v2, vcc, v10, v6, vcc
	v_addc_co_u32_e32 v5, vcc, 0, v8, vcc
	v_add_co_u32_e32 v2, vcc, v2, v7
	v_addc_co_u32_e32 v7, vcc, 0, v5, vcc
	v_mul_lo_u32 v8, s25, v2
	v_mul_lo_u32 v9, s24, v7
	v_mad_u64_u32 v[5:6], s[0:1], s24, v2, 0
	v_add3_u32 v6, v6, v9, v8
	v_sub_u32_e32 v8, v4, v6
	v_mov_b32_e32 v9, s25
	v_sub_co_u32_e32 v5, vcc, v3, v5
	v_subb_co_u32_e64 v8, s[0:1], v8, v9, vcc
	v_subrev_co_u32_e64 v9, s[0:1], s24, v5
	v_subbrev_co_u32_e64 v8, s[0:1], 0, v8, s[0:1]
	v_cmp_le_u32_e64 s[0:1], s25, v8
	v_cndmask_b32_e64 v10, 0, -1, s[0:1]
	v_cmp_le_u32_e64 s[0:1], s24, v9
	v_cndmask_b32_e64 v9, 0, -1, s[0:1]
	v_cmp_eq_u32_e64 s[0:1], s25, v8
	v_cndmask_b32_e64 v8, v10, v9, s[0:1]
	v_add_co_u32_e64 v9, s[0:1], 2, v2
	v_addc_co_u32_e64 v10, s[0:1], 0, v7, s[0:1]
	v_add_co_u32_e64 v11, s[0:1], 1, v2
	v_addc_co_u32_e64 v12, s[0:1], 0, v7, s[0:1]
	v_subb_co_u32_e32 v6, vcc, v4, v6, vcc
	v_cmp_ne_u32_e64 s[0:1], 0, v8
	v_cmp_le_u32_e32 vcc, s25, v6
	v_cndmask_b32_e64 v8, v12, v10, s[0:1]
	v_cndmask_b32_e64 v10, 0, -1, vcc
	v_cmp_le_u32_e32 vcc, s24, v5
	v_cndmask_b32_e64 v5, 0, -1, vcc
	v_cmp_eq_u32_e32 vcc, s25, v6
	v_cndmask_b32_e32 v5, v10, v5, vcc
	v_cmp_ne_u32_e32 vcc, 0, v5
	v_cndmask_b32_e64 v5, v11, v9, s[0:1]
	v_cndmask_b32_e32 v20, v7, v8, vcc
	v_cndmask_b32_e32 v19, v2, v5, vcc
.LBB0_4:                                ;   in Loop: Header=BB0_2 Depth=1
	s_andn2_saveexec_b64 s[0:1], s[26:27]
	s_cbranch_execz .LBB0_6
; %bb.5:                                ;   in Loop: Header=BB0_2 Depth=1
	v_cvt_f32_u32_e32 v2, s24
	s_sub_i32 s26, 0, s24
	v_mov_b32_e32 v20, v1
	v_rcp_iflag_f32_e32 v2, v2
	v_mul_f32_e32 v2, 0x4f7ffffe, v2
	v_cvt_u32_f32_e32 v2, v2
	v_mul_lo_u32 v5, s26, v2
	v_mul_hi_u32 v5, v2, v5
	v_add_u32_e32 v2, v2, v5
	v_mul_hi_u32 v2, v3, v2
	v_mul_lo_u32 v5, v2, s24
	v_add_u32_e32 v6, 1, v2
	v_sub_u32_e32 v5, v3, v5
	v_subrev_u32_e32 v7, s24, v5
	v_cmp_le_u32_e32 vcc, s24, v5
	v_cndmask_b32_e32 v5, v5, v7, vcc
	v_cndmask_b32_e32 v2, v2, v6, vcc
	v_add_u32_e32 v6, 1, v2
	v_cmp_le_u32_e32 vcc, s24, v5
	v_cndmask_b32_e32 v19, v2, v6, vcc
.LBB0_6:                                ;   in Loop: Header=BB0_2 Depth=1
	s_or_b64 exec, exec, s[0:1]
	v_mul_lo_u32 v2, v20, s24
	v_mul_lo_u32 v7, v19, s25
	v_mad_u64_u32 v[5:6], s[0:1], v19, s24, 0
	s_load_dwordx2 s[0:1], s[6:7], 0x0
	s_load_dwordx2 s[24:25], s[2:3], 0x0
	v_add3_u32 v2, v6, v7, v2
	v_sub_co_u32_e32 v3, vcc, v3, v5
	v_subb_co_u32_e32 v2, vcc, v4, v2, vcc
	s_waitcnt lgkmcnt(0)
	v_mul_lo_u32 v4, s0, v2
	v_mul_lo_u32 v5, s1, v3
	v_mad_u64_u32 v[33:34], s[0:1], s0, v3, v[33:34]
	v_mul_lo_u32 v2, s24, v2
	v_mul_lo_u32 v6, s25, v3
	v_mad_u64_u32 v[16:17], s[0:1], s24, v3, v[16:17]
	s_add_u32 s22, s22, 1
	s_addc_u32 s23, s23, 0
	s_add_u32 s2, s2, 8
	v_add3_u32 v17, v6, v17, v2
	s_addc_u32 s3, s3, 0
	v_mov_b32_e32 v2, s14
	s_add_u32 s6, s6, 8
	v_mov_b32_e32 v3, s15
	s_addc_u32 s7, s7, 0
	v_cmp_ge_u64_e32 vcc, s[22:23], v[2:3]
	s_add_u32 s20, s20, 8
	v_add3_u32 v34, v5, v34, v4
	s_addc_u32 s21, s21, 0
	s_cbranch_vccnz .LBB0_8
; %bb.7:                                ;   in Loop: Header=BB0_2 Depth=1
	v_mov_b32_e32 v3, v19
	v_mov_b32_e32 v4, v20
	s_branch .LBB0_2
.LBB0_8:
	s_load_dwordx2 s[0:1], s[4:5], 0x28
	s_lshl_b64 s[6:7], s[14:15], 3
	s_add_u32 s2, s18, s6
	s_addc_u32 s3, s19, s7
                                        ; implicit-def: $sgpr14_sgpr15
                                        ; implicit-def: $vgpr18
	s_waitcnt lgkmcnt(0)
	v_cmp_gt_u64_e32 vcc, s[0:1], v[19:20]
	v_cmp_le_u64_e64 s[0:1], s[0:1], v[19:20]
	s_and_saveexec_b64 s[4:5], s[0:1]
	s_xor_b64 s[0:1], exec, s[4:5]
; %bb.9:
	s_mov_b32 s4, 0x3c3c3c4
	v_mul_hi_u32 v1, v0, s4
	s_mov_b64 s[14:15], 0
                                        ; implicit-def: $vgpr33_vgpr34
	v_mul_u32_u24_e32 v1, 0x44, v1
	v_sub_u32_e32 v18, v0, v1
                                        ; implicit-def: $vgpr0
; %bb.10:
	s_or_saveexec_b64 s[4:5], s[0:1]
	v_mov_b32_e32 v14, s14
	v_mov_b32_e32 v15, s15
                                        ; implicit-def: $vgpr26
                                        ; implicit-def: $vgpr22
                                        ; implicit-def: $vgpr13
                                        ; implicit-def: $vgpr9
                                        ; implicit-def: $vgpr5
                                        ; implicit-def: $vgpr1
                                        ; implicit-def: $vgpr3
                                        ; implicit-def: $vgpr7
                                        ; implicit-def: $vgpr11
                                        ; implicit-def: $vgpr24
                                        ; implicit-def: $vgpr30
                                        ; implicit-def: $vgpr28
	s_xor_b64 exec, exec, s[4:5]
	s_cbranch_execz .LBB0_12
; %bb.11:
	s_add_u32 s0, s16, s6
	s_addc_u32 s1, s17, s7
	s_load_dwordx2 s[0:1], s[0:1], 0x0
	s_mov_b32 s6, 0x3c3c3c4
	v_mul_hi_u32 v3, v0, s6
	s_waitcnt lgkmcnt(0)
	v_mul_lo_u32 v4, s1, v19
	v_mul_lo_u32 v5, s0, v20
	v_mad_u64_u32 v[1:2], s[0:1], s0, v19, 0
	v_mul_u32_u24_e32 v3, 0x44, v3
	v_sub_u32_e32 v18, v0, v3
	v_add3_u32 v2, v2, v5, v4
	v_lshlrev_b64 v[0:1], 3, v[1:2]
	v_mov_b32_e32 v2, s9
	v_add_co_u32_e64 v3, s[0:1], s8, v0
	v_addc_co_u32_e64 v2, s[0:1], v2, v1, s[0:1]
	v_lshlrev_b64 v[0:1], 3, v[33:34]
	v_add_co_u32_e64 v0, s[0:1], v3, v0
	v_addc_co_u32_e64 v1, s[0:1], v2, v1, s[0:1]
	v_lshlrev_b32_e32 v2, 3, v18
	v_add_co_u32_e64 v32, s[0:1], v0, v2
	v_addc_co_u32_e64 v33, s[0:1], 0, v1, s[0:1]
	s_movk_i32 s0, 0x1000
	v_add_co_u32_e64 v34, s[0:1], s0, v32
	global_load_dwordx2 v[14:15], v[32:33], off
	global_load_dwordx2 v[25:26], v[32:33], off offset:544
	global_load_dwordx2 v[21:22], v[32:33], off offset:1088
	;; [unrolled: 1-line block ×3, first 2 shown]
	v_addc_co_u32_e64 v35, s[0:1], 0, v33, s[0:1]
	global_load_dwordx2 v[8:9], v[32:33], off offset:2176
	global_load_dwordx2 v[4:5], v[32:33], off offset:2720
	global_load_dwordx2 v[0:1], v[32:33], off offset:3264
	global_load_dwordx2 v[2:3], v[32:33], off offset:3808
	global_load_dwordx2 v[6:7], v[34:35], off offset:256
	global_load_dwordx2 v[10:11], v[34:35], off offset:800
	global_load_dwordx2 v[23:24], v[34:35], off offset:1344
	global_load_dwordx2 v[27:28], v[34:35], off offset:1888
	global_load_dwordx2 v[29:30], v[34:35], off offset:2432
.LBB0_12:
	s_or_b64 exec, exec, s[4:5]
	s_mov_b32 s0, 0xaaaaaaab
	v_mul_hi_u32 v32, v31, s0
	s_waitcnt vmcnt(11)
	v_add_f32_e32 v33, v25, v14
	s_waitcnt vmcnt(10)
	v_add_f32_e32 v33, v21, v33
	s_movk_i32 s0, 0xffd0
	v_lshrrev_b32_e32 v32, 1, v32
	v_lshl_add_u32 v32, v32, 1, v32
	v_sub_u32_e32 v31, v31, v32
	v_mul_u32_u24_e32 v55, 0x374, v31
	s_waitcnt vmcnt(9)
	v_add_f32_e32 v31, v12, v33
	s_waitcnt vmcnt(8)
	v_add_f32_e32 v31, v8, v31
	s_waitcnt vmcnt(7)
	v_add_f32_e32 v31, v4, v31
	s_waitcnt vmcnt(6)
	v_add_f32_e32 v31, v0, v31
	s_waitcnt vmcnt(5)
	v_add_f32_e32 v31, v2, v31
	s_waitcnt vmcnt(4)
	v_add_f32_e32 v31, v6, v31
	s_waitcnt vmcnt(3)
	v_add_f32_e32 v31, v10, v31
	s_waitcnt vmcnt(2)
	v_add_f32_e32 v31, v23, v31
	s_waitcnt vmcnt(1)
	v_add_f32_e32 v31, v27, v31
	s_waitcnt vmcnt(0)
	v_add_f32_e32 v32, v29, v31
	v_add_f32_e32 v31, v25, v29
	v_mul_f32_e32 v34, 0x3f62ad3f, v31
	v_mul_f32_e32 v36, 0x3f116cb1, v31
	;; [unrolled: 1-line block ×6, first 2 shown]
	v_sub_f32_e32 v33, v26, v30
	v_mov_b32_e32 v35, v34
	v_mov_b32_e32 v37, v36
	;; [unrolled: 1-line block ×6, first 2 shown]
	v_fmac_f32_e32 v35, 0x3eedf032, v33
	v_fmac_f32_e32 v34, 0xbeedf032, v33
	v_fmac_f32_e32 v37, 0x3f52af12, v33
	v_fmac_f32_e32 v36, 0xbf52af12, v33
	v_fmac_f32_e32 v39, 0x3f7e222b, v33
	v_fmac_f32_e32 v38, 0xbf7e222b, v33
	v_fmac_f32_e32 v41, 0x3f6f5d39, v33
	v_fmac_f32_e32 v40, 0xbf6f5d39, v33
	v_fmac_f32_e32 v43, 0x3f29c268, v33
	v_fmac_f32_e32 v42, 0xbf29c268, v33
	v_fmac_f32_e32 v44, 0x3e750f2a, v33
	v_fmac_f32_e32 v31, 0xbe750f2a, v33
	v_add_f32_e32 v35, v35, v14
	v_add_f32_e32 v34, v34, v14
	;; [unrolled: 1-line block ×13, first 2 shown]
	v_sub_f32_e32 v33, v22, v28
	v_mul_f32_e32 v45, 0x3f116cb1, v31
	v_mov_b32_e32 v46, v45
	v_fmac_f32_e32 v45, 0xbf52af12, v33
	v_fmac_f32_e32 v46, 0x3f52af12, v33
	v_add_f32_e32 v34, v45, v34
	v_mul_f32_e32 v45, 0xbeb58ec6, v31
	v_add_f32_e32 v35, v46, v35
	v_mov_b32_e32 v46, v45
	v_fmac_f32_e32 v45, 0xbf6f5d39, v33
	v_fmac_f32_e32 v46, 0x3f6f5d39, v33
	v_add_f32_e32 v36, v45, v36
	v_mul_f32_e32 v45, 0xbf788fa5, v31
	v_add_f32_e32 v37, v46, v37
	v_mov_b32_e32 v46, v45
	v_fmac_f32_e32 v45, 0xbe750f2a, v33
	v_fmac_f32_e32 v46, 0x3e750f2a, v33
	v_add_f32_e32 v38, v45, v38
	v_mul_f32_e32 v45, 0xbf3f9e67, v31
	v_add_f32_e32 v39, v46, v39
	v_mov_b32_e32 v46, v45
	v_fmac_f32_e32 v45, 0x3f29c268, v33
	v_fmac_f32_e32 v46, 0xbf29c268, v33
	v_add_f32_e32 v40, v45, v40
	v_mul_f32_e32 v45, 0x3df6dbef, v31
	v_add_f32_e32 v41, v46, v41
	v_mov_b32_e32 v46, v45
	v_fmac_f32_e32 v45, 0x3f7e222b, v33
	v_mul_f32_e32 v31, 0x3f62ad3f, v31
	v_add_f32_e32 v42, v45, v42
	v_mov_b32_e32 v45, v31
	v_fmac_f32_e32 v31, 0x3eedf032, v33
	v_fmac_f32_e32 v45, 0xbeedf032, v33
	v_add_f32_e32 v14, v31, v14
	v_add_f32_e32 v31, v12, v23
	v_fmac_f32_e32 v46, 0xbf7e222b, v33
	v_add_f32_e32 v44, v45, v44
	v_sub_f32_e32 v33, v13, v24
	v_mul_f32_e32 v45, 0x3df6dbef, v31
	v_add_f32_e32 v43, v46, v43
	v_mov_b32_e32 v46, v45
	v_fmac_f32_e32 v45, 0xbf7e222b, v33
	v_fmac_f32_e32 v46, 0x3f7e222b, v33
	v_add_f32_e32 v34, v45, v34
	v_mul_f32_e32 v45, 0xbf788fa5, v31
	v_add_f32_e32 v35, v46, v35
	v_mov_b32_e32 v46, v45
	v_fmac_f32_e32 v45, 0xbe750f2a, v33
	v_fmac_f32_e32 v46, 0x3e750f2a, v33
	v_add_f32_e32 v36, v45, v36
	v_mul_f32_e32 v45, 0xbeb58ec6, v31
	v_add_f32_e32 v37, v46, v37
	v_mov_b32_e32 v46, v45
	v_fmac_f32_e32 v45, 0x3f6f5d39, v33
	v_fmac_f32_e32 v46, 0xbf6f5d39, v33
	v_add_f32_e32 v38, v45, v38
	v_mul_f32_e32 v45, 0x3f62ad3f, v31
	v_add_f32_e32 v39, v46, v39
	v_mov_b32_e32 v46, v45
	v_fmac_f32_e32 v45, 0x3eedf032, v33
	v_fmac_f32_e32 v46, 0xbeedf032, v33
	v_add_f32_e32 v40, v45, v40
	v_mul_f32_e32 v45, 0x3f116cb1, v31
	v_add_f32_e32 v41, v46, v41
	v_mov_b32_e32 v46, v45
	v_fmac_f32_e32 v45, 0xbf52af12, v33
	v_mul_f32_e32 v31, 0xbf3f9e67, v31
	v_add_f32_e32 v42, v45, v42
	v_mov_b32_e32 v45, v31
	v_fmac_f32_e32 v31, 0xbf29c268, v33
	v_fmac_f32_e32 v45, 0x3f29c268, v33
	v_add_f32_e32 v14, v31, v14
	v_add_f32_e32 v31, v8, v10
	v_fmac_f32_e32 v46, 0x3f52af12, v33
	v_add_f32_e32 v44, v45, v44
	v_sub_f32_e32 v33, v9, v11
	v_mul_f32_e32 v45, 0xbeb58ec6, v31
	v_add_f32_e32 v43, v46, v43
	;; [unrolled: 38-line block ×3, first 2 shown]
	v_mov_b32_e32 v46, v45
	v_fmac_f32_e32 v45, 0xbf29c268, v33
	v_fmac_f32_e32 v46, 0x3f29c268, v33
	v_add_f32_e32 v34, v45, v34
	v_mul_f32_e32 v45, 0x3df6dbef, v31
	v_add_f32_e32 v35, v46, v35
	v_mov_b32_e32 v46, v45
	v_fmac_f32_e32 v45, 0x3f7e222b, v33
	v_fmac_f32_e32 v46, 0xbf7e222b, v33
	v_add_f32_e32 v36, v45, v36
	v_mul_f32_e32 v45, 0x3f116cb1, v31
	v_add_f32_e32 v37, v46, v37
	;; [unrolled: 6-line block ×4, first 2 shown]
	v_mov_b32_e32 v46, v45
	v_fmac_f32_e32 v45, 0x3eedf032, v33
	v_mul_f32_e32 v31, 0xbeb58ec6, v31
	v_add_f32_e32 v42, v45, v42
	v_mov_b32_e32 v45, v31
	v_fmac_f32_e32 v46, 0xbeedf032, v33
	v_fmac_f32_e32 v45, 0x3f6f5d39, v33
	;; [unrolled: 1-line block ×3, first 2 shown]
	v_add_f32_e32 v33, v0, v2
	v_add_f32_e32 v44, v45, v44
	;; [unrolled: 1-line block ×3, first 2 shown]
	v_sub_f32_e32 v45, v1, v3
	v_mul_f32_e32 v31, 0xbf788fa5, v33
	v_add_f32_e32 v43, v46, v43
	v_mov_b32_e32 v46, v31
	v_fmac_f32_e32 v31, 0xbe750f2a, v45
	v_fmac_f32_e32 v46, 0x3e750f2a, v45
	v_add_f32_e32 v31, v31, v34
	v_mul_f32_e32 v34, 0x3f62ad3f, v33
	v_add_f32_e32 v35, v46, v35
	v_mov_b32_e32 v46, v34
	v_fmac_f32_e32 v34, 0x3eedf032, v45
	v_fmac_f32_e32 v46, 0xbeedf032, v45
	v_add_f32_e32 v34, v34, v36
	;; [unrolled: 6-line block ×4, first 2 shown]
	v_mul_f32_e32 v40, 0xbeb58ec6, v33
	v_add_f32_e32 v41, v46, v41
	v_mov_b32_e32 v46, v40
	v_fmac_f32_e32 v40, 0xbf6f5d39, v45
	v_mul_f32_e32 v33, 0x3df6dbef, v33
	v_add_f32_e32 v40, v40, v42
	v_mov_b32_e32 v42, v33
	v_fmac_f32_e32 v42, 0xbf7e222b, v45
	v_add_f32_e32 v42, v42, v44
	v_fmac_f32_e32 v33, 0x3f7e222b, v45
	v_lshl_add_u32 v44, v55, 2, 0
	v_add_f32_e32 v33, v33, v14
	v_mad_u32_u24 v14, v18, 52, v44
	v_fmac_f32_e32 v46, 0x3f6f5d39, v45
	v_mad_i32_i24 v56, v18, s0, v14
	v_add_f32_e32 v43, v46, v43
	v_add_u32_e32 v46, 0x200, v56
	v_add_u32_e32 v47, 0x400, v56
	v_add_u32_e32 v48, 0x800, v56
	v_add_u32_e32 v49, 0x600, v56
	s_load_dwordx2 s[4:5], s[2:3], 0x0
	ds_write2_b32 v14, v32, v35 offset1:1
	ds_write2_b32 v14, v37, v39 offset0:2 offset1:3
	ds_write2_b32 v14, v41, v43 offset0:4 offset1:5
	;; [unrolled: 1-line block ×5, first 2 shown]
	ds_write_b32 v14, v31 offset:48
	s_waitcnt lgkmcnt(0)
	s_barrier
	v_lshl_add_u32 v57, v18, 2, v44
	ds_read2_b32 v[43:44], v46 offset0:93 offset1:161
	ds_read2_b32 v[35:36], v47 offset0:101 offset1:186
	;; [unrolled: 1-line block ×5, first 2 shown]
	ds_read_b32 v58, v57
	ds_read_b32 v59, v56 offset:3196
	s_mov_b32 s8, 0x3f62ad3f
	s_mov_b32 s7, 0x3f116cb1
	;; [unrolled: 1-line block ×6, first 2 shown]
	v_cmp_gt_u32_e64 s[0:1], 17, v18
                                        ; implicit-def: $vgpr37
	s_and_saveexec_b64 s[2:3], s[0:1]
	s_cbranch_execz .LBB0_14
; %bb.13:
	v_add_u32_e32 v31, 0x300, v56
	v_add_u32_e32 v37, 0xa00, v56
	ds_read2_b32 v[31:32], v31 offset0:12 offset1:233
	ds_read2_b32 v[37:38], v37 offset0:6 offset1:227
.LBB0_14:
	s_or_b64 exec, exec, s[2:3]
	v_add_f32_e32 v45, v26, v15
	v_add_f32_e32 v45, v22, v45
	v_add_f32_e32 v45, v13, v45
	v_add_f32_e32 v45, v9, v45
	v_add_f32_e32 v45, v5, v45
	v_add_f32_e32 v45, v1, v45
	v_add_f32_e32 v45, v3, v45
	v_add_f32_e32 v45, v7, v45
	v_add_f32_e32 v45, v11, v45
	v_add_f32_e32 v45, v24, v45
	v_add_f32_e32 v45, v28, v45
	v_sub_f32_e32 v25, v25, v29
	v_add_f32_e32 v50, v30, v45
	v_mul_f32_e32 v29, 0xbeedf032, v25
	v_mul_f32_e32 v45, 0xbf52af12, v25
	;; [unrolled: 1-line block ×6, first 2 shown]
	v_add_f32_e32 v26, v26, v30
	v_mov_b32_e32 v30, v29
	v_mov_b32_e32 v51, v45
	;; [unrolled: 1-line block ×6, first 2 shown]
	v_fmac_f32_e32 v30, 0x3f62ad3f, v26
	v_fma_f32 v29, v26, s8, -v29
	v_fmac_f32_e32 v51, 0x3f116cb1, v26
	v_fma_f32 v45, v26, s7, -v45
	;; [unrolled: 2-line block ×6, first 2 shown]
	v_sub_f32_e32 v21, v21, v27
	v_add_f32_e32 v30, v30, v15
	v_add_f32_e32 v29, v29, v15
	;; [unrolled: 1-line block ×13, first 2 shown]
	v_mul_f32_e32 v25, 0xbf52af12, v21
	v_mov_b32_e32 v26, v25
	v_fma_f32 v25, v22, s7, -v25
	v_mul_f32_e32 v27, 0xbf6f5d39, v21
	v_fmac_f32_e32 v26, 0x3f116cb1, v22
	v_add_f32_e32 v25, v25, v29
	v_mov_b32_e32 v28, v27
	v_fma_f32 v27, v22, s9, -v27
	v_mul_f32_e32 v29, 0xbe750f2a, v21
	v_add_f32_e32 v26, v26, v30
	v_fmac_f32_e32 v28, 0xbeb58ec6, v22
	v_add_f32_e32 v27, v27, v45
	v_mov_b32_e32 v30, v29
	v_fma_f32 v29, v22, s15, -v29
	v_mul_f32_e32 v45, 0x3f29c268, v21
	v_add_f32_e32 v28, v28, v51
	v_add_f32_e32 v29, v29, v52
	v_mov_b32_e32 v51, v45
	v_fma_f32 v45, v22, s14, -v45
	v_mul_f32_e32 v52, 0x3f7e222b, v21
	v_mul_f32_e32 v21, 0x3eedf032, v21
	v_fmac_f32_e32 v30, 0xbf788fa5, v22
	v_add_f32_e32 v45, v45, v54
	v_mov_b32_e32 v54, v21
	v_fma_f32 v21, v22, s8, -v21
	v_sub_f32_e32 v12, v12, v23
	v_add_f32_e32 v30, v30, v53
	v_mov_b32_e32 v53, v52
	v_add_f32_e32 v15, v21, v15
	v_add_f32_e32 v13, v13, v24
	v_mul_f32_e32 v21, 0xbf7e222b, v12
	v_fmac_f32_e32 v51, 0xbf3f9e67, v22
	v_fmac_f32_e32 v53, 0x3df6dbef, v22
	v_fma_f32 v52, v22, s6, -v52
	v_fmac_f32_e32 v54, 0x3f62ad3f, v22
	v_mov_b32_e32 v22, v21
	v_fma_f32 v21, v13, s6, -v21
	v_mul_f32_e32 v23, 0xbe750f2a, v12
	v_fmac_f32_e32 v22, 0x3df6dbef, v13
	v_add_f32_e32 v21, v21, v25
	v_mov_b32_e32 v24, v23
	v_fma_f32 v23, v13, s15, -v23
	v_mul_f32_e32 v25, 0x3f6f5d39, v12
	v_add_f32_e32 v22, v22, v26
	v_fmac_f32_e32 v24, 0xbf788fa5, v13
	v_add_f32_e32 v23, v23, v27
	v_mov_b32_e32 v26, v25
	v_fma_f32 v25, v13, s9, -v25
	v_mul_f32_e32 v27, 0x3eedf032, v12
	v_add_f32_e32 v24, v24, v28
	v_fmac_f32_e32 v26, 0xbeb58ec6, v13
	v_add_f32_e32 v25, v25, v29
	v_mov_b32_e32 v28, v27
	v_fma_f32 v27, v13, s8, -v27
	v_mul_f32_e32 v29, 0xbf52af12, v12
	v_mul_f32_e32 v12, 0xbf29c268, v12
	v_sub_f32_e32 v8, v8, v10
	v_add_f32_e32 v26, v26, v30
	v_add_f32_e32 v27, v27, v45
	v_mov_b32_e32 v30, v29
	v_mov_b32_e32 v45, v12
	v_add_f32_e32 v9, v9, v11
	v_mul_f32_e32 v10, 0xbf6f5d39, v8
	v_fmac_f32_e32 v28, 0x3f62ad3f, v13
	v_fmac_f32_e32 v30, 0x3f116cb1, v13
	v_fma_f32 v29, v13, s7, -v29
	v_fmac_f32_e32 v45, 0xbf3f9e67, v13
	v_fma_f32 v12, v13, s14, -v12
	v_mov_b32_e32 v11, v10
	v_fma_f32 v10, v9, s9, -v10
	v_mul_f32_e32 v13, 0x3f29c268, v8
	v_add_f32_e32 v12, v12, v15
	v_fmac_f32_e32 v11, 0xbeb58ec6, v9
	v_add_f32_e32 v10, v10, v21
	v_mov_b32_e32 v15, v13
	v_fma_f32 v13, v9, s14, -v13
	v_mul_f32_e32 v21, 0x3eedf032, v8
	v_add_f32_e32 v11, v11, v22
	v_fmac_f32_e32 v15, 0xbf3f9e67, v9
	v_add_f32_e32 v13, v13, v23
	v_mov_b32_e32 v22, v21
	v_fma_f32 v21, v9, s8, -v21
	v_mul_f32_e32 v23, 0xbf7e222b, v8
	v_sub_f32_e32 v4, v4, v6
	v_add_f32_e32 v15, v15, v24
	v_fmac_f32_e32 v22, 0x3f62ad3f, v9
	v_add_f32_e32 v21, v21, v25
	v_mov_b32_e32 v24, v23
	v_fma_f32 v23, v9, s6, -v23
	v_mul_f32_e32 v25, 0x3e750f2a, v8
	v_mul_f32_e32 v8, 0x3f52af12, v8
	;; [unrolled: 1-line block ×3, first 2 shown]
	v_add_f32_e32 v22, v22, v26
	v_add_f32_e32 v23, v23, v27
	v_mov_b32_e32 v26, v25
	v_mov_b32_e32 v27, v8
	v_add_f32_e32 v5, v5, v7
	v_mov_b32_e32 v7, v6
	v_fmac_f32_e32 v24, 0x3df6dbef, v9
	v_fmac_f32_e32 v26, 0xbf788fa5, v9
	v_fma_f32 v25, v9, s15, -v25
	v_fmac_f32_e32 v27, 0x3f116cb1, v9
	v_fma_f32 v8, v9, s7, -v8
	;; [unrolled: 2-line block ×3, first 2 shown]
	v_mul_f32_e32 v9, 0x3f7e222b, v4
	v_add_f32_e32 v7, v7, v11
	v_add_f32_e32 v6, v6, v10
	v_mov_b32_e32 v10, v9
	v_fma_f32 v9, v5, s6, -v9
	v_mul_f32_e32 v11, 0xbf52af12, v4
	v_sub_f32_e32 v0, v0, v2
	v_add_f32_e32 v54, v54, v63
	v_add_f32_e32 v8, v8, v12
	v_fmac_f32_e32 v10, 0x3df6dbef, v5
	v_add_f32_e32 v9, v9, v13
	v_mov_b32_e32 v12, v11
	v_fma_f32 v11, v5, s7, -v11
	v_mul_f32_e32 v13, 0x3e750f2a, v4
	v_add_f32_e32 v1, v1, v3
	v_mul_f32_e32 v2, 0xbe750f2a, v0
	v_add_f32_e32 v45, v45, v54
	v_add_f32_e32 v10, v10, v15
	v_fmac_f32_e32 v12, 0x3f116cb1, v5
	v_add_f32_e32 v11, v11, v21
	v_mov_b32_e32 v15, v13
	v_fma_f32 v13, v5, s15, -v13
	v_mul_f32_e32 v21, 0x3eedf032, v4
	v_mul_f32_e32 v4, 0xbf6f5d39, v4
	v_mov_b32_e32 v3, v2
	v_fma_f32 v2, v1, s15, -v2
	v_add_f32_e32 v27, v27, v45
	v_add_f32_e32 v12, v12, v22
	;; [unrolled: 1-line block ×3, first 2 shown]
	v_mov_b32_e32 v22, v21
	v_mov_b32_e32 v23, v4
	v_add_f32_e32 v45, v2, v6
	v_mul_f32_e32 v2, 0x3eedf032, v0
	v_fmac_f32_e32 v15, 0xbf788fa5, v5
	v_fmac_f32_e32 v22, 0x3f62ad3f, v5
	v_fma_f32 v21, v5, s8, -v21
	v_fmac_f32_e32 v23, 0xbeb58ec6, v5
	v_fma_f32 v4, v5, s9, -v4
	v_fmac_f32_e32 v3, 0xbf788fa5, v1
	v_mov_b32_e32 v5, v2
	v_mul_f32_e32 v6, 0xbf29c268, v0
	v_add_f32_e32 v51, v51, v60
	v_add_f32_e32 v53, v53, v62
	;; [unrolled: 1-line block ×4, first 2 shown]
	v_fmac_f32_e32 v5, 0x3f62ad3f, v1
	v_mov_b32_e32 v7, v6
	v_add_f32_e32 v28, v28, v51
	v_add_f32_e32 v30, v30, v53
	;; [unrolled: 1-line block ×5, first 2 shown]
	v_fma_f32 v2, v1, s8, -v2
	v_fmac_f32_e32 v7, 0xbf3f9e67, v1
	v_fma_f32 v6, v1, s14, -v6
	v_mul_f32_e32 v8, 0x3f52af12, v0
	v_mul_f32_e32 v10, 0xbf6f5d39, v0
	;; [unrolled: 1-line block ×3, first 2 shown]
	v_add_f32_e32 v24, v24, v28
	v_add_f32_e32 v26, v26, v30
	;; [unrolled: 1-line block ×6, first 2 shown]
	v_mov_b32_e32 v9, v8
	v_mov_b32_e32 v11, v10
	;; [unrolled: 1-line block ×3, first 2 shown]
	v_add_f32_e32 v15, v15, v24
	v_add_f32_e32 v22, v22, v26
	;; [unrolled: 1-line block ×4, first 2 shown]
	v_fmac_f32_e32 v9, 0x3f116cb1, v1
	v_fma_f32 v8, v1, s7, -v8
	v_fmac_f32_e32 v11, 0xbeb58ec6, v1
	v_fma_f32 v10, v1, s9, -v10
	;; [unrolled: 2-line block ×3, first 2 shown]
	v_add_f32_e32 v9, v9, v15
	v_add_f32_e32 v8, v8, v13
	;; [unrolled: 1-line block ×6, first 2 shown]
	s_waitcnt lgkmcnt(0)
	s_barrier
	ds_write2_b32 v14, v50, v3 offset1:1
	ds_write2_b32 v14, v5, v7 offset0:2 offset1:3
	ds_write2_b32 v14, v9, v11 offset0:4 offset1:5
	;; [unrolled: 1-line block ×5, first 2 shown]
	ds_write_b32 v14, v45 offset:48
	s_waitcnt lgkmcnt(0)
	s_barrier
	ds_read2_b32 v[23:24], v46 offset0:93 offset1:161
	ds_read2_b32 v[51:52], v47 offset0:101 offset1:186
	;; [unrolled: 1-line block ×5, first 2 shown]
	ds_read_b32 v61, v57
	ds_read_b32 v25, v56 offset:3196
                                        ; implicit-def: $vgpr53
	s_and_saveexec_b64 s[2:3], s[0:1]
	s_cbranch_execz .LBB0_16
; %bb.15:
	v_add_u32_e32 v0, 0x300, v56
	ds_read2_b32 v[45:46], v0 offset0:12 offset1:233
	v_add_u32_e32 v0, 0xa00, v56
	ds_read2_b32 v[53:54], v0 offset0:6 offset1:227
.LBB0_16:
	s_or_b64 exec, exec, s[2:3]
	s_movk_i32 s6, 0x4f
	v_mul_lo_u16_sdwa v0, v18, s6 dst_sel:DWORD dst_unused:UNUSED_PAD src0_sel:BYTE_0 src1_sel:DWORD
	v_lshrrev_b16_e32 v30, 10, v0
	v_mul_lo_u16_e32 v0, 13, v30
	v_sub_u16_e32 v69, v18, v0
	v_mov_b32_e32 v8, 3
	v_mul_u32_u24_sdwa v0, v69, v8 dst_sel:DWORD dst_unused:UNUSED_PAD src0_sel:BYTE_0 src1_sel:DWORD
	v_lshlrev_b32_e32 v4, 3, v0
	global_load_dwordx2 v[26:27], v4, s[12:13] offset:16
	global_load_dwordx4 v[0:3], v4, s[12:13]
	v_add_u16_e32 v4, 0x44, v18
	v_mul_lo_u16_sdwa v5, v4, s6 dst_sel:DWORD dst_unused:UNUSED_PAD src0_sel:BYTE_0 src1_sel:DWORD
	v_lshrrev_b16_e32 v70, 10, v5
	v_mul_lo_u16_e32 v5, 13, v70
	v_sub_u16_e32 v71, v4, v5
	v_mul_u32_u24_sdwa v4, v71, v8 dst_sel:DWORD dst_unused:UNUSED_PAD src0_sel:BYTE_0 src1_sel:DWORD
	v_lshlrev_b32_e32 v9, 3, v4
	global_load_dwordx2 v[28:29], v9, s[12:13] offset:16
	global_load_dwordx4 v[4:7], v9, s[12:13]
	v_add_u16_e32 v9, 0x88, v18
	v_mul_lo_u16_sdwa v10, v9, s6 dst_sel:DWORD dst_unused:UNUSED_PAD src0_sel:BYTE_0 src1_sel:DWORD
	v_lshrrev_b16_e32 v72, 10, v10
	v_mul_lo_u16_e32 v10, 13, v72
	v_sub_u16_e32 v73, v9, v10
	v_mul_u32_u24_sdwa v8, v73, v8 dst_sel:DWORD dst_unused:UNUSED_PAD src0_sel:BYTE_0 src1_sel:DWORD
	v_add_u32_e32 v60, 0xcc, v18
	v_lshlrev_b32_e32 v12, 3, v8
	s_movk_i32 s2, 0x4ec5
	global_load_dwordx2 v[65:66], v12, s[12:13] offset:16
	global_load_dwordx4 v[8:11], v12, s[12:13]
	v_mul_u32_u24_sdwa v12, v60, s2 dst_sel:DWORD dst_unused:UNUSED_PAD src0_sel:WORD_0 src1_sel:DWORD
	v_lshrrev_b32_e32 v12, 18, v12
	v_mul_lo_u16_e32 v12, 13, v12
	v_sub_u16_e32 v74, v60, v12
	v_mul_u32_u24_e32 v12, 3, v74
	v_lshlrev_b32_e32 v62, 3, v12
	global_load_dwordx4 v[12:15], v62, s[12:13]
	global_load_dwordx2 v[67:68], v62, s[12:13] offset:16
	s_movk_i32 s7, 0xd0
	v_mad_u32_u24 v30, v30, s7, 0
	s_waitcnt vmcnt(0) lgkmcnt(0)
	s_barrier
	v_mul_f32_e32 v77, v21, v27
	v_mul_f32_e32 v75, v23, v1
	;; [unrolled: 1-line block ×5, first 2 shown]
	v_fma_f32 v41, v41, v26, -v77
	v_fmac_f32_e32 v27, v21, v26
	v_fma_f32 v21, v43, v0, -v75
	v_mul_f32_e32 v79, v22, v29
	v_mul_f32_e32 v78, v24, v5
	;; [unrolled: 1-line block ×5, first 2 shown]
	v_fmac_f32_e32 v64, v23, v0
	v_fma_f32 v0, v36, v2, -v76
	v_fma_f32 v26, v44, v4, -v78
	v_fmac_f32_e32 v63, v24, v4
	v_fma_f32 v4, v33, v6, -v5
	v_fma_f32 v5, v42, v28, -v79
	v_fmac_f32_e32 v29, v22, v28
	v_mul_f32_e32 v80, v51, v9
	v_mul_f32_e32 v1, v35, v9
	;; [unrolled: 1-line block ×4, first 2 shown]
	v_fma_f32 v22, v35, v8, -v80
	v_mul_f32_e32 v82, v46, v13
	v_mul_f32_e32 v62, v32, v13
	;; [unrolled: 1-line block ×3, first 2 shown]
	v_fma_f32 v28, v32, v12, -v82
	v_fmac_f32_e32 v62, v46, v12
	v_sub_f32_e32 v12, v58, v0
	v_sub_f32_e32 v0, v21, v41
	v_mul_f32_e32 v13, v53, v15
	v_mul_f32_e32 v68, v38, v68
	v_fma_f32 v42, v38, v67, -v83
	v_sub_f32_e32 v32, v64, v27
	v_sub_f32_e32 v27, v39, v4
	;; [unrolled: 1-line block ×3, first 2 shown]
	v_fma_f32 v4, v58, 2.0, -v12
	v_fma_f32 v5, v21, 2.0, -v0
	v_fma_f32 v35, v37, v14, -v13
	v_sub_f32_e32 v43, v63, v29
	v_fma_f32 v13, v26, 2.0, -v38
	v_sub_f32_e32 v26, v4, v5
	v_mul_f32_e32 v66, v59, v66
	v_fmac_f32_e32 v1, v51, v8
	v_fma_f32 v8, v34, v10, -v9
	v_fma_f32 v9, v59, v65, -v81
	v_sub_f32_e32 v23, v12, v32
	v_fma_f32 v41, v4, 2.0, -v26
	v_sub_f32_e32 v4, v27, v43
	v_fmac_f32_e32 v66, v25, v65
	v_fma_f32 v21, v39, 2.0, -v27
	v_fma_f32 v25, v12, 2.0, -v23
	;; [unrolled: 1-line block ×3, first 2 shown]
	v_sub_f32_e32 v39, v22, v9
	v_sub_f32_e32 v27, v31, v35
	;; [unrolled: 1-line block ×3, first 2 shown]
	v_fma_f32 v9, v22, 2.0, -v39
	v_fma_f32 v22, v31, 2.0, -v27
	v_mov_b32_e32 v31, 2
	v_fmac_f32_e32 v68, v54, v67
	v_fma_f32 v5, v40, 2.0, -v8
	v_sub_f32_e32 v44, v28, v42
	v_lshlrev_b32_sdwa v35, v31, v69 dst_sel:DWORD dst_unused:UNUSED_PAD src0_sel:DWORD src1_sel:BYTE_0
	v_lshlrev_b32_e32 v40, 2, v55
	v_sub_f32_e32 v13, v21, v13
	v_sub_f32_e32 v46, v1, v66
	;; [unrolled: 1-line block ×3, first 2 shown]
	v_fma_f32 v28, v28, 2.0, -v44
	v_add3_u32 v55, v30, v35, v40
	v_mad_u32_u24 v30, v70, s7, 0
	v_lshlrev_b32_sdwa v35, v31, v71 dst_sel:DWORD dst_unused:UNUSED_PAD src0_sel:DWORD src1_sel:BYTE_0
	v_fma_f32 v24, v21, 2.0, -v13
	v_sub_f32_e32 v9, v5, v9
	v_sub_f32_e32 v21, v8, v46
	;; [unrolled: 1-line block ×4, first 2 shown]
	v_add3_u32 v58, v30, v35, v40
	v_mad_u32_u24 v30, v72, s7, 0
	v_lshlrev_b32_sdwa v31, v31, v73 dst_sel:DWORD dst_unused:UNUSED_PAD src0_sel:DWORD src1_sel:BYTE_0
	v_fma_f32 v5, v5, 2.0, -v9
	v_fma_f32 v8, v8, 2.0, -v21
	;; [unrolled: 1-line block ×4, first 2 shown]
	v_add3_u32 v59, v30, v31, v40
	v_lshlrev_b32_e32 v54, 2, v74
	ds_write2_b32 v55, v41, v25 offset1:13
	ds_write2_b32 v55, v26, v23 offset0:26 offset1:39
	ds_write2_b32 v58, v24, v12 offset1:13
	ds_write2_b32 v58, v13, v4 offset0:26 offset1:39
	;; [unrolled: 2-line block ×3, first 2 shown]
	s_and_saveexec_b64 s[2:3], s[0:1]
	s_cbranch_execz .LBB0_18
; %bb.17:
	v_mul_lo_u16_sdwa v30, v60, s6 dst_sel:DWORD dst_unused:UNUSED_PAD src0_sel:BYTE_0 src1_sel:DWORD
	v_lshrrev_b16_e32 v30, 10, v30
	v_mad_u32_u24 v30, v30, s7, 0
	v_add3_u32 v30, v30, v54, v40
	ds_write2_b32 v30, v22, v27 offset1:13
	ds_write2_b32 v30, v28, v29 offset0:26 offset1:39
.LBB0_18:
	s_or_b64 exec, exec, s[2:3]
	v_cmp_gt_u32_e64 s[2:3], 52, v18
	s_waitcnt lgkmcnt(0)
	s_barrier
	s_and_saveexec_b64 s[6:7], s[2:3]
	s_cbranch_execz .LBB0_20
; %bb.19:
	ds_read_b32 v41, v57
	ds_read2_b32 v[25:26], v56 offset0:52 offset1:104
	ds_read2_b32 v[23:24], v56 offset0:156 offset1:208
	v_add_u32_e32 v4, 0x400, v56
	v_add_u32_e32 v8, 0x600, v56
	;; [unrolled: 1-line block ×4, first 2 shown]
	ds_read2_b32 v[12:13], v4 offset0:4 offset1:56
	ds_read2_b32 v[4:5], v4 offset0:108 offset1:160
	;; [unrolled: 1-line block ×6, first 2 shown]
.LBB0_20:
	s_or_b64 exec, exec, s[6:7]
	v_mul_f32_e32 v3, v36, v3
	v_fmac_f32_e32 v3, v52, v2
	v_mul_f32_e32 v2, v33, v7
	v_mul_f32_e32 v7, v34, v11
	v_sub_f32_e32 v3, v61, v3
	v_fmac_f32_e32 v2, v49, v6
	v_fmac_f32_e32 v7, v50, v10
	v_fma_f32 v6, v61, 2.0, -v3
	v_fma_f32 v10, v64, 2.0, -v32
	v_sub_f32_e32 v36, v6, v10
	v_add_f32_e32 v33, v3, v0
	v_sub_f32_e32 v0, v47, v2
	v_fma_f32 v42, v6, 2.0, -v36
	v_fma_f32 v35, v3, 2.0, -v33
	;; [unrolled: 1-line block ×4, first 2 shown]
	v_add_f32_e32 v6, v0, v38
	v_mul_f32_e32 v15, v37, v15
	v_sub_f32_e32 v32, v2, v3
	v_fma_f32 v31, v0, 2.0, -v6
	v_sub_f32_e32 v0, v48, v7
	v_fmac_f32_e32 v15, v53, v14
	v_fma_f32 v34, v2, 2.0, -v32
	v_fma_f32 v2, v48, 2.0, -v0
	;; [unrolled: 1-line block ×3, first 2 shown]
	v_add_f32_e32 v14, v0, v39
	v_sub_f32_e32 v11, v2, v1
	v_fma_f32 v10, v0, 2.0, -v14
	v_sub_f32_e32 v0, v45, v15
	v_fma_f32 v7, v2, 2.0, -v11
	v_fma_f32 v1, v45, 2.0, -v0
	;; [unrolled: 1-line block ×3, first 2 shown]
	v_sub_f32_e32 v38, v1, v2
	v_add_f32_e32 v39, v0, v44
	v_fma_f32 v15, v1, 2.0, -v38
	v_fma_f32 v37, v0, 2.0, -v39
	s_waitcnt lgkmcnt(0)
	s_barrier
	ds_write2_b32 v55, v42, v35 offset1:13
	ds_write2_b32 v55, v36, v33 offset0:26 offset1:39
	ds_write2_b32 v58, v34, v31 offset1:13
	ds_write2_b32 v58, v32, v6 offset0:26 offset1:39
	;; [unrolled: 2-line block ×3, first 2 shown]
	s_and_saveexec_b64 s[6:7], s[0:1]
	s_cbranch_execz .LBB0_22
; %bb.21:
	s_movk_i32 s0, 0x4f
	v_mul_lo_u16_sdwa v0, v60, s0 dst_sel:DWORD dst_unused:UNUSED_PAD src0_sel:BYTE_0 src1_sel:DWORD
	v_lshrrev_b16_e32 v0, 10, v0
	s_movk_i32 s0, 0xd0
	v_mad_u32_u24 v0, v0, s0, 0
	v_add3_u32 v0, v0, v54, v40
	ds_write2_b32 v0, v15, v37 offset1:13
	ds_write2_b32 v0, v38, v39 offset0:26 offset1:39
.LBB0_22:
	s_or_b64 exec, exec, s[6:7]
	s_waitcnt lgkmcnt(0)
	s_barrier
	s_and_saveexec_b64 s[0:1], s[2:3]
	s_cbranch_execz .LBB0_24
; %bb.23:
	v_add_u32_e32 v0, 0x400, v56
	ds_read_b32 v42, v57
	ds_read2_b32 v[35:36], v56 offset0:52 offset1:104
	ds_read2_b32 v[33:34], v56 offset0:156 offset1:208
	;; [unrolled: 1-line block ×4, first 2 shown]
	v_add_u32_e32 v0, 0x600, v56
	ds_read2_b32 v[10:11], v0 offset0:84 offset1:136
	v_add_u32_e32 v0, 0x800, v56
	ds_read2_b32 v[14:15], v0 offset0:60 offset1:112
	ds_read2_b32 v[37:38], v0 offset0:164 offset1:216
	v_add_u32_e32 v0, 0xc00, v56
	ds_read2_b32 v[39:40], v0 offset0:12 offset1:64
.LBB0_24:
	s_or_b64 exec, exec, s[0:1]
	v_cmp_gt_u32_e64 s[0:1], 52, v18
	s_and_b64 s[0:1], vcc, s[0:1]
	s_and_saveexec_b64 s[6:7], s[0:1]
	s_cbranch_execz .LBB0_26
; %bb.25:
	v_lshlrev_b32_e32 v0, 4, v18
	v_add_u32_e32 v1, 0xfffffcc0, v0
	v_cndmask_b32_e64 v0, v1, v0, s[2:3]
	v_mov_b32_e32 v1, 0
	v_lshlrev_b64 v[2:3], 3, v[0:1]
	v_mov_b32_e32 v0, s13
	v_add_co_u32_e32 v51, vcc, s12, v2
	v_addc_co_u32_e32 v52, vcc, v0, v3, vcc
	global_load_dwordx4 v[43:46], v[51:52], off offset:424
	global_load_dwordx4 v[47:50], v[51:52], off offset:312
	;; [unrolled: 1-line block ×8, first 2 shown]
	v_mul_lo_u32 v0, s5, v19
	v_mul_lo_u32 v20, s4, v20
	v_mad_u64_u32 v[2:3], s[0:1], s4, v19, 0
	s_mov_b32 s1, 0xbf59a7d5
	s_mov_b32 s6, 0x3ee437d1
	v_add3_u32 v3, v3, v20, v0
	s_mov_b32 s7, 0x3dbcf732
	s_mov_b32 s3, 0xbf1a4643
	;; [unrolled: 1-line block ×6, first 2 shown]
	v_lshlrev_b64 v[2:3], 3, v[2:3]
	s_waitcnt vmcnt(7) lgkmcnt(0)
	v_mul_f32_e32 v0, v40, v45
	s_waitcnt vmcnt(6)
	v_mul_f32_e32 v19, v35, v47
	v_mul_f32_e32 v52, v35, v48
	;; [unrolled: 1-line block ×5, first 2 shown]
	s_waitcnt vmcnt(5)
	v_mul_f32_e32 v36, v38, v56
	v_mul_f32_e32 v68, v38, v57
	s_waitcnt vmcnt(4)
	v_mul_f32_e32 v38, v34, v60
	v_mul_f32_e32 v69, v34, v61
	;; [unrolled: 1-line block ×3, first 2 shown]
	s_waitcnt vmcnt(3)
	v_mul_f32_e32 v34, v15, v64
	v_mul_f32_e32 v15, v15, v65
	v_fmac_f32_e32 v19, v25, v48
	v_fmac_f32_e32 v0, v30, v46
	v_mul_f32_e32 v40, v40, v46
	v_mul_f32_e32 v66, v39, v44
	;; [unrolled: 1-line block ×5, first 2 shown]
	v_fmac_f32_e32 v35, v26, v50
	v_fmac_f32_e32 v20, v29, v44
	v_fma_f32 v50, v27, v54, -v70
	v_fmac_f32_e32 v34, v22, v65
	v_fma_f32 v54, v22, v64, -v15
	v_add_f32_e32 v22, v0, v19
	s_waitcnt vmcnt(2)
	v_mul_f32_e32 v37, v31, v71
	v_mul_f32_e32 v83, v31, v72
	;; [unrolled: 1-line block ×5, first 2 shown]
	v_fma_f32 v48, v25, v47, -v52
	v_fma_f32 v49, v26, v49, -v53
	;; [unrolled: 1-line block ×3, first 2 shown]
	v_fmac_f32_e32 v36, v28, v57
	v_fmac_f32_e32 v39, v23, v59
	v_fma_f32 v53, v23, v58, -v67
	v_add_f32_e32 v23, v20, v35
	v_mul_f32_e32 v88, 0x3ee437d1, v22
	v_fma_f32 v45, v29, v43, -v66
	v_fma_f32 v47, v28, v56, -v68
	v_fmac_f32_e32 v33, v27, v55
	v_fmac_f32_e32 v38, v24, v61
	v_fma_f32 v55, v24, v60, -v69
	v_fmac_f32_e32 v37, v12, v72
	v_fma_f32 v56, v12, v71, -v83
	v_fmac_f32_e32 v31, v21, v63
	v_fmac_f32_e32 v51, v13, v74
	v_sub_f32_e32 v72, v48, v40
	v_add_f32_e32 v24, v36, v39
	v_mul_f32_e32 v87, 0xbf1a4643, v23
	v_mov_b32_e32 v12, v88
	v_fma_f32 v59, v13, v73, -v32
	v_mul_f32_e32 v13, v14, v63
	s_waitcnt vmcnt(0)
	v_mul_f32_e32 v63, v6, v79
	v_mul_f32_e32 v6, v6, v80
	v_sub_f32_e32 v71, v49, v45
	v_add_f32_e32 v25, v33, v38
	v_mul_f32_e32 v86, 0xbf7ba420, v24
	v_mov_b32_e32 v15, v87
	v_fmac_f32_e32 v12, 0x3f65296c, v72
	v_fma_f32 v61, v4, v79, -v6
	v_mul_f32_e32 v67, v7, v81
	v_mul_f32_e32 v6, v7, v82
	v_sub_f32_e32 v70, v53, v47
	v_add_f32_e32 v26, v34, v37
	v_mul_f32_e32 v85, 0xbe8c1d8e, v25
	v_mov_b32_e32 v27, v86
	v_fmac_f32_e32 v15, 0x3f4c4adb, v71
	v_add_f32_e32 v12, v42, v12
	v_fmac_f32_e32 v67, v5, v82
	v_fma_f32 v64, v5, v81, -v6
	v_mul_f32_e32 v5, v10, v76
	v_sub_f32_e32 v69, v55, v50
	v_mul_f32_e32 v84, 0x3f3d2fb0, v26
	v_mov_b32_e32 v28, v85
	v_fmac_f32_e32 v27, 0xbe3c28d5, v70
	v_add_f32_e32 v12, v12, v15
	v_mul_f32_e32 v66, v10, v75
	v_fma_f32 v65, v8, v75, -v5
	v_sub_f32_e32 v75, v19, v0
	v_sub_f32_e32 v68, v56, v54
	v_mov_b32_e32 v29, v84
	v_fmac_f32_e32 v28, 0xbf763a35, v69
	v_add_f32_e32 v12, v12, v27
	v_fmac_f32_e32 v66, v8, v76
	v_mul_f32_e32 v91, 0xbf65296c, v75
	v_sub_f32_e32 v76, v35, v20
	v_fmac_f32_e32 v29, 0xbf2c7751, v68
	v_add_f32_e32 v12, v12, v28
	v_fmac_f32_e32 v63, v4, v80
	v_mul_f32_e32 v4, v11, v78
	v_add_f32_e32 v28, v40, v48
	v_mov_b32_e32 v5, v91
	v_mul_f32_e32 v92, 0xbf4c4adb, v76
	v_add_f32_e32 v12, v12, v29
	v_fma_f32 v58, v21, v62, -v13
	v_mul_f32_e32 v62, v11, v77
	v_fma_f32 v60, v9, v77, -v4
	v_fmac_f32_e32 v5, 0x3ee437d1, v28
	v_add_f32_e32 v29, v45, v49
	v_mov_b32_e32 v6, v92
	v_sub_f32_e32 v77, v39, v36
	v_add_f32_e32 v5, v41, v5
	v_fmac_f32_e32 v6, 0xbf1a4643, v29
	v_mul_f32_e32 v93, 0x3e3c28d5, v77
	v_fmac_f32_e32 v62, v9, v78
	v_add_f32_e32 v5, v5, v6
	v_add_f32_e32 v30, v47, v53
	v_mov_b32_e32 v6, v93
	v_sub_f32_e32 v78, v38, v33
	v_fmac_f32_e32 v6, 0xbf7ba420, v30
	v_mul_f32_e32 v94, 0x3f763a35, v78
	v_add_f32_e32 v5, v5, v6
	v_add_f32_e32 v32, v50, v55
	v_mov_b32_e32 v6, v94
	v_sub_f32_e32 v79, v37, v34
	v_fmac_f32_e32 v6, 0xbe8c1d8e, v32
	v_mul_f32_e32 v95, 0x3f2c7751, v79
	;; [unrolled: 6-line block ×3, first 2 shown]
	v_add_f32_e32 v27, v31, v51
	v_add_f32_e32 v5, v5, v6
	;; [unrolled: 1-line block ×3, first 2 shown]
	v_mov_b32_e32 v6, v96
	v_sub_f32_e32 v81, v63, v62
	v_mul_f32_e32 v89, 0x3f6eb680, v27
	v_add_f32_e32 v21, v62, v63
	v_fmac_f32_e32 v6, 0x3f6eb680, v44
	v_mul_f32_e32 v97, 0xbf7ee86f, v81
	v_sub_f32_e32 v73, v59, v58
	v_mov_b32_e32 v13, v89
	v_mul_f32_e32 v90, 0x3dbcf732, v21
	v_add_f32_e32 v5, v5, v6
	v_add_f32_e32 v46, v60, v61
	v_mov_b32_e32 v6, v97
	v_add_f32_e32 v57, v66, v67
	v_fmac_f32_e32 v13, 0x3eb8f4ab, v73
	v_sub_f32_e32 v74, v61, v60
	v_mov_b32_e32 v4, v90
	v_fmac_f32_e32 v6, 0x3dbcf732, v46
	v_mul_f32_e32 v98, 0xbf59a7d5, v57
	v_add_f32_e32 v12, v12, v13
	v_fmac_f32_e32 v4, 0x3f7ee86f, v74
	v_add_f32_e32 v6, v5, v6
	v_sub_f32_e32 v82, v64, v65
	v_mov_b32_e32 v5, v98
	v_sub_f32_e32 v83, v67, v66
	v_add_f32_e32 v4, v12, v4
	v_fmac_f32_e32 v5, 0x3f06c442, v82
	v_mul_f32_e32 v99, 0xbf06c442, v83
	v_add_f32_e32 v5, v4, v5
	v_add_f32_e32 v52, v65, v64
	v_mov_b32_e32 v4, v99
	v_fmac_f32_e32 v4, 0xbf59a7d5, v52
	v_mul_f32_e32 v106, 0x3dbcf732, v22
	v_add_f32_e32 v4, v6, v4
	v_mov_b32_e32 v6, v106
	v_mul_f32_e32 v107, 0xbf7ba420, v23
	v_fmac_f32_e32 v6, 0x3f7ee86f, v72
	v_mov_b32_e32 v7, v107
	v_add_f32_e32 v6, v42, v6
	v_fmac_f32_e32 v7, 0x3e3c28d5, v71
	v_mul_f32_e32 v108, 0xbe8c1d8e, v24
	v_add_f32_e32 v6, v6, v7
	v_mov_b32_e32 v7, v108
	v_fmac_f32_e32 v7, 0xbf763a35, v70
	v_mul_f32_e32 v109, 0x3f6eb680, v25
	v_add_f32_e32 v6, v6, v7
	v_mov_b32_e32 v7, v109
	v_fmac_f32_e32 v7, 0xbeb8f4ab, v69
	v_mul_f32_e32 v110, 0x3ee437d1, v26
	v_add_f32_e32 v6, v6, v7
	v_mov_b32_e32 v7, v110
	v_fmac_f32_e32 v7, 0x3f65296c, v68
	v_mul_f32_e32 v111, 0xbf59a7d5, v27
	v_add_f32_e32 v6, v6, v7
	v_mov_b32_e32 v7, v111
	v_fmac_f32_e32 v7, 0x3f06c442, v73
	v_mul_f32_e32 v112, 0xbf1a4643, v21
	v_add_f32_e32 v6, v6, v7
	v_mov_b32_e32 v7, v112
	v_fmac_f32_e32 v7, 0xbf4c4adb, v74
	v_mul_f32_e32 v113, 0xbf7ee86f, v75
	v_add_f32_e32 v6, v6, v7
	v_mov_b32_e32 v7, v113
	v_mul_f32_e32 v114, 0xbe3c28d5, v76
	v_fmac_f32_e32 v7, 0x3dbcf732, v28
	v_mov_b32_e32 v8, v114
	v_add_f32_e32 v7, v41, v7
	v_fmac_f32_e32 v8, 0xbf7ba420, v29
	v_mul_f32_e32 v115, 0x3f763a35, v77
	v_add_f32_e32 v7, v7, v8
	v_mov_b32_e32 v8, v115
	v_fmac_f32_e32 v8, 0xbe8c1d8e, v30
	v_mul_f32_e32 v116, 0x3eb8f4ab, v78
	v_add_f32_e32 v7, v7, v8
	v_mov_b32_e32 v8, v116
	v_fmac_f32_e32 v8, 0x3f6eb680, v32
	v_mul_f32_e32 v117, 0xbf65296c, v79
	v_add_f32_e32 v7, v7, v8
	v_mov_b32_e32 v8, v117
	v_fmac_f32_e32 v8, 0x3ee437d1, v43
	v_mul_f32_e32 v118, 0xbf06c442, v80
	v_add_f32_e32 v7, v7, v8
	v_mov_b32_e32 v8, v118
	v_fmac_f32_e32 v8, 0xbf59a7d5, v44
	v_mul_f32_e32 v119, 0x3f4c4adb, v81
	v_add_f32_e32 v7, v7, v8
	v_mov_b32_e32 v8, v119
	v_fmac_f32_e32 v8, 0xbf1a4643, v46
	v_mul_f32_e32 v120, 0x3f3d2fb0, v57
	v_add_f32_e32 v8, v7, v8
	v_mov_b32_e32 v7, v120
	v_fmac_f32_e32 v7, 0xbf2c7751, v82
	v_mul_f32_e32 v121, 0x3f2c7751, v83
	v_add_f32_e32 v7, v6, v7
	v_mov_b32_e32 v6, v121
	v_fmac_f32_e32 v6, 0x3f3d2fb0, v52
	v_mul_f32_e32 v104, 0xbe8c1d8e, v22
	v_add_f32_e32 v6, v8, v6
	v_mov_b32_e32 v8, v104
	v_mul_f32_e32 v105, 0xbf59a7d5, v23
	v_fmac_f32_e32 v8, 0x3f763a35, v72
	v_mov_b32_e32 v9, v105
	v_add_f32_e32 v8, v42, v8
	v_fmac_f32_e32 v9, 0xbf06c442, v71
	v_mul_f32_e32 v122, 0x3f3d2fb0, v24
	v_add_f32_e32 v8, v8, v9
	v_mov_b32_e32 v9, v122
	v_fmac_f32_e32 v9, 0xbf2c7751, v70
	v_mul_f32_e32 v123, 0x3ee437d1, v25
	v_add_f32_e32 v8, v8, v9
	v_mov_b32_e32 v9, v123
	v_fmac_f32_e32 v9, 0x3f65296c, v69
	v_mul_f32_e32 v124, 0xbf7ba420, v26
	v_add_f32_e32 v8, v8, v9
	v_mov_b32_e32 v9, v124
	v_fmac_f32_e32 v9, 0x3e3c28d5, v68
	v_mul_f32_e32 v125, 0x3dbcf732, v27
	v_add_f32_e32 v8, v8, v9
	v_mov_b32_e32 v9, v125
	v_fmac_f32_e32 v9, 0xbf7ee86f, v73
	v_mul_f32_e32 v126, 0x3f6eb680, v21
	v_add_f32_e32 v8, v8, v9
	v_mov_b32_e32 v9, v126
	v_fmac_f32_e32 v9, 0x3eb8f4ab, v74
	v_mul_f32_e32 v127, 0xbf763a35, v75
	v_add_f32_e32 v8, v8, v9
	v_mov_b32_e32 v9, v127
	v_mul_f32_e32 v128, 0x3f06c442, v76
	v_fmac_f32_e32 v9, 0xbe8c1d8e, v28
	v_mov_b32_e32 v10, v128
	v_add_f32_e32 v9, v41, v9
	v_fmac_f32_e32 v10, 0xbf59a7d5, v29
	v_mul_f32_e32 v129, 0x3f2c7751, v77
	v_add_f32_e32 v9, v9, v10
	v_mov_b32_e32 v10, v129
	v_fmac_f32_e32 v10, 0x3f3d2fb0, v30
	v_mul_f32_e32 v130, 0xbf65296c, v78
	v_add_f32_e32 v9, v9, v10
	v_mov_b32_e32 v10, v130
	v_fmac_f32_e32 v10, 0x3ee437d1, v32
	v_mul_f32_e32 v131, 0xbe3c28d5, v79
	v_add_f32_e32 v9, v9, v10
	v_mov_b32_e32 v10, v131
	v_fmac_f32_e32 v10, 0xbf7ba420, v43
	v_mul_f32_e32 v132, 0x3f7ee86f, v80
	v_add_f32_e32 v9, v9, v10
	v_mov_b32_e32 v10, v132
	v_fmac_f32_e32 v10, 0x3dbcf732, v44
	v_mul_f32_e32 v133, 0xbeb8f4ab, v81
	v_add_f32_e32 v9, v9, v10
	v_mov_b32_e32 v10, v133
	v_fmac_f32_e32 v10, 0x3f6eb680, v46
	v_mul_f32_e32 v134, 0xbf1a4643, v57
	v_add_f32_e32 v10, v9, v10
	v_mov_b32_e32 v9, v134
	v_fmac_f32_e32 v9, 0x3f4c4adb, v82
	v_mul_f32_e32 v135, 0xbf4c4adb, v83
	;; [unrolled: 64-line block ×3, first 2 shown]
	v_add_f32_e32 v11, v10, v11
	v_mov_b32_e32 v10, v147
	v_fmac_f32_e32 v10, 0xbe8c1d8e, v52
	v_mul_f32_e32 v14, 0xbf7ba420, v22
	v_add_f32_e32 v10, v12, v10
	v_mov_b32_e32 v12, v14
	v_mul_f32_e32 v15, 0x3f6eb680, v23
	v_fmac_f32_e32 v12, 0x3e3c28d5, v72
	v_mov_b32_e32 v13, v15
	v_add_f32_e32 v12, v42, v12
	v_fmac_f32_e32 v13, 0xbeb8f4ab, v71
	v_mul_f32_e32 v148, 0xbf59a7d5, v24
	v_add_f32_e32 v12, v12, v13
	v_mov_b32_e32 v13, v148
	v_fmac_f32_e32 v100, 0xbf06c442, v72
	v_fmac_f32_e32 v88, 0xbf65296c, v72
	;; [unrolled: 1-line block ×3, first 2 shown]
	v_mul_f32_e32 v149, 0x3f3d2fb0, v25
	v_add_f32_e32 v100, v42, v100
	v_fmac_f32_e32 v101, 0x3f65296c, v71
	v_add_f32_e32 v88, v42, v88
	v_fmac_f32_e32 v87, 0xbf4c4adb, v71
	v_add_f32_e32 v12, v12, v13
	v_mov_b32_e32 v13, v149
	v_add_f32_e32 v100, v100, v101
	v_fmac_f32_e32 v102, 0xbf7ee86f, v70
	v_fma_f32 v101, v28, s1, -v139
	v_add_f32_e32 v87, v88, v87
	v_fmac_f32_e32 v86, 0x3e3c28d5, v70
	v_fmac_f32_e32 v13, 0xbf2c7751, v69
	v_mul_f32_e32 v150, 0xbf1a4643, v26
	v_add_f32_e32 v100, v100, v102
	v_add_f32_e32 v101, v41, v101
	v_fma_f32 v102, v29, s6, -v140
	v_add_f32_e32 v86, v87, v86
	v_fmac_f32_e32 v85, 0x3f763a35, v69
	v_add_f32_e32 v12, v12, v13
	v_mov_b32_e32 v13, v150
	v_fmac_f32_e32 v103, 0x3f4c4adb, v69
	v_add_f32_e32 v101, v101, v102
	v_fma_f32 v102, v30, s7, -v141
	v_add_f32_e32 v85, v86, v85
	v_fmac_f32_e32 v84, 0x3f2c7751, v68
	v_fmac_f32_e32 v13, 0x3f4c4adb, v68
	v_mul_f32_e32 v151, 0x3ee437d1, v27
	v_add_f32_e32 v100, v100, v103
	v_fmac_f32_e32 v136, 0xbeb8f4ab, v68
	v_add_f32_e32 v101, v101, v102
	v_fma_f32 v102, v32, s3, -v142
	v_add_f32_e32 v84, v85, v84
	v_fma_f32 v85, v28, s6, -v91
	v_add_f32_e32 v12, v12, v13
	v_mov_b32_e32 v13, v151
	v_add_f32_e32 v100, v100, v136
	v_fmac_f32_e32 v137, 0xbe3c28d5, v73
	v_add_f32_e32 v101, v101, v102
	v_fma_f32 v102, v43, s2, -v143
	v_add_f32_e32 v85, v41, v85
	v_fma_f32 v86, v29, s3, -v92
	v_fmac_f32_e32 v13, 0xbf65296c, v73
	v_mul_f32_e32 v152, 0xbe8c1d8e, v21
	v_add_f32_e32 v100, v100, v137
	v_fmac_f32_e32 v138, 0x3f2c7751, v74
	v_add_f32_e32 v101, v101, v102
	v_fma_f32 v102, v44, s0, -v144
	v_add_f32_e32 v85, v85, v86
	v_fma_f32 v86, v30, s0, -v93
	v_add_f32_e32 v19, v42, v19
	v_add_f32_e32 v12, v12, v13
	v_mov_b32_e32 v13, v152
	v_add_f32_e32 v100, v100, v138
	v_add_f32_e32 v101, v101, v102
	v_fma_f32 v102, v46, s4, -v145
	v_fmac_f32_e32 v146, 0xbf763a35, v82
	v_add_f32_e32 v85, v85, v86
	v_fma_f32 v86, v32, s5, -v94
	v_add_f32_e32 v19, v19, v35
	v_fmac_f32_e32 v13, 0x3f763a35, v74
	v_mul_f32_e32 v153, 0xbe3c28d5, v75
	v_add_f32_e32 v102, v101, v102
	v_add_f32_e32 v101, v100, v146
	v_fma_f32 v100, v52, s5, -v147
	v_mul_f32_e32 v136, 0xbf4c4adb, v72
	v_fmac_f32_e32 v89, 0xbeb8f4ab, v73
	v_add_f32_e32 v85, v85, v86
	v_fma_f32 v86, v43, s4, -v95
	v_add_f32_e32 v19, v19, v39
	v_add_f32_e32 v12, v12, v13
	v_mov_b32_e32 v13, v153
	v_mul_f32_e32 v154, 0x3eb8f4ab, v76
	v_add_f32_e32 v100, v102, v100
	v_mov_b32_e32 v102, v136
	v_mul_f32_e32 v137, 0x3f763a35, v71
	v_add_f32_e32 v84, v84, v89
	v_fmac_f32_e32 v90, 0xbf7ee86f, v74
	v_add_f32_e32 v85, v85, v86
	v_fma_f32 v86, v44, s2, -v96
	v_add_f32_e32 v19, v19, v38
	v_fmac_f32_e32 v13, 0xbf7ba420, v28
	v_mov_b32_e32 v155, v154
	v_fmac_f32_e32 v102, 0xbf1a4643, v22
	v_mov_b32_e32 v103, v137
	v_add_f32_e32 v84, v84, v90
	v_add_f32_e32 v85, v85, v86
	v_fma_f32 v86, v46, s7, -v97
	v_fmac_f32_e32 v98, 0xbf06c442, v82
	v_add_f32_e32 v19, v19, v37
	v_add_f32_e32 v13, v41, v13
	v_fmac_f32_e32 v155, 0x3f6eb680, v29
	v_add_f32_e32 v102, v42, v102
	v_fmac_f32_e32 v103, 0xbe8c1d8e, v23
	v_mul_f32_e32 v138, 0xbeb8f4ab, v70
	v_add_f32_e32 v86, v85, v86
	v_add_f32_e32 v85, v84, v98
	v_fma_f32 v84, v52, s1, -v99
	v_mul_f32_e32 v88, 0xbf2c7751, v72
	v_add_f32_e32 v19, v19, v51
	v_add_f32_e32 v13, v13, v155
	v_mul_f32_e32 v155, 0xbf06c442, v77
	v_add_f32_e32 v102, v102, v103
	v_mov_b32_e32 v103, v138
	v_add_f32_e32 v84, v86, v84
	v_mov_b32_e32 v86, v88
	v_mul_f32_e32 v89, 0xbf7ee86f, v71
	v_add_f32_e32 v19, v19, v63
	v_mov_b32_e32 v156, v155
	v_fmac_f32_e32 v103, 0x3f6eb680, v24
	v_mul_f32_e32 v139, 0xbf06c442, v69
	v_fmac_f32_e32 v86, 0x3f3d2fb0, v22
	v_mov_b32_e32 v87, v89
	v_add_f32_e32 v19, v19, v67
	v_fmac_f32_e32 v156, 0xbf59a7d5, v30
	v_add_f32_e32 v102, v102, v103
	v_mov_b32_e32 v103, v139
	v_add_f32_e32 v86, v42, v86
	v_fmac_f32_e32 v87, 0x3dbcf732, v23
	v_mul_f32_e32 v90, 0xbf4c4adb, v70
	v_add_f32_e32 v19, v66, v19
	v_add_f32_e32 v13, v13, v156
	v_mul_f32_e32 v156, 0x3f2c7751, v78
	v_fmac_f32_e32 v103, 0xbf59a7d5, v25
	v_mul_f32_e32 v140, 0x3f7ee86f, v68
	v_add_f32_e32 v86, v86, v87
	v_mov_b32_e32 v87, v90
	v_add_f32_e32 v19, v62, v19
	v_mov_b32_e32 v157, v156
	;; [unrolled: 2-line block ×3, first 2 shown]
	v_fmac_f32_e32 v87, 0xbf1a4643, v24
	v_mul_f32_e32 v91, 0xbe3c28d5, v69
	v_add_f32_e32 v19, v31, v19
	v_fmac_f32_e32 v157, 0x3f3d2fb0, v32
	v_fmac_f32_e32 v103, 0x3dbcf732, v26
	v_mul_f32_e32 v141, 0xbf2c7751, v73
	v_add_f32_e32 v86, v86, v87
	v_mov_b32_e32 v87, v91
	v_add_f32_e32 v19, v34, v19
	v_add_f32_e32 v13, v13, v157
	v_mul_f32_e32 v157, 0xbf4c4adb, v79
	v_add_f32_e32 v102, v102, v103
	v_mov_b32_e32 v103, v141
	v_fmac_f32_e32 v87, 0xbf7ba420, v25
	v_mul_f32_e32 v92, 0x3f06c442, v68
	v_add_f32_e32 v19, v33, v19
	v_mov_b32_e32 v158, v157
	v_fmac_f32_e32 v14, 0xbe3c28d5, v72
	v_fmac_f32_e32 v103, 0x3f3d2fb0, v27
	v_mul_f32_e32 v142, 0xbe3c28d5, v74
	v_add_f32_e32 v86, v86, v87
	v_mov_b32_e32 v87, v92
	v_add_f32_e32 v19, v36, v19
	v_fmac_f32_e32 v158, 0xbf1a4643, v43
	v_add_f32_e32 v14, v42, v14
	v_fmac_f32_e32 v15, 0x3eb8f4ab, v71
	v_add_f32_e32 v102, v102, v103
	v_mov_b32_e32 v103, v142
	v_fmac_f32_e32 v87, 0xbf59a7d5, v26
	v_mul_f32_e32 v93, 0x3f763a35, v73
	v_add_f32_e32 v19, v20, v19
	v_add_f32_e32 v20, v41, v48
	;; [unrolled: 1-line block ×3, first 2 shown]
	v_mul_f32_e32 v158, 0x3f65296c, v80
	v_add_f32_e32 v14, v14, v15
	v_fmac_f32_e32 v148, 0xbf06c442, v70
	v_fma_f32 v15, v28, s0, -v153
	v_fmac_f32_e32 v103, 0xbf7ba420, v21
	v_mul_f32_e32 v143, 0xbf4c4adb, v75
	v_add_f32_e32 v86, v86, v87
	v_mov_b32_e32 v87, v93
	v_add_f32_e32 v20, v20, v49
	v_mov_b32_e32 v159, v158
	v_add_f32_e32 v14, v14, v148
	v_add_f32_e32 v15, v41, v15
	v_fma_f32 v148, v29, s2, -v154
	v_add_f32_e32 v102, v102, v103
	v_fma_f32 v103, v28, s3, -v143
	v_mul_f32_e32 v144, 0x3f763a35, v76
	v_fmac_f32_e32 v106, 0xbf7ee86f, v72
	v_fmac_f32_e32 v87, 0xbe8c1d8e, v27
	v_mul_f32_e32 v94, 0x3f65296c, v74
	v_add_f32_e32 v20, v20, v53
	v_fmac_f32_e32 v159, 0x3ee437d1, v44
	v_fmac_f32_e32 v149, 0x3f2c7751, v69
	v_add_f32_e32 v15, v15, v148
	v_fma_f32 v148, v30, s1, -v155
	v_add_f32_e32 v103, v41, v103
	v_fma_f32 v145, v29, s5, -v144
	v_add_f32_e32 v106, v42, v106
	v_fmac_f32_e32 v107, 0xbe3c28d5, v71
	v_add_f32_e32 v86, v86, v87
	v_mov_b32_e32 v87, v94
	v_add_f32_e32 v20, v20, v55
	v_add_f32_e32 v34, v0, v19
	v_fma_f32 v0, v22, s3, -v136
	v_add_f32_e32 v13, v13, v159
	v_mul_f32_e32 v159, 0xbf763a35, v81
	v_add_f32_e32 v14, v14, v149
	v_fmac_f32_e32 v150, 0xbf4c4adb, v68
	v_add_f32_e32 v15, v15, v148
	v_fma_f32 v148, v32, s4, -v156
	v_add_f32_e32 v103, v103, v145
	v_mul_f32_e32 v145, 0xbeb8f4ab, v77
	v_add_f32_e32 v106, v106, v107
	v_fmac_f32_e32 v108, 0x3f763a35, v70
	v_fma_f32 v107, v28, s7, -v113
	v_fmac_f32_e32 v87, 0x3ee437d1, v21
	v_mul_f32_e32 v95, 0xbf2c7751, v75
	v_add_f32_e32 v20, v20, v56
	v_add_f32_e32 v0, v42, v0
	v_fma_f32 v19, v23, s5, -v137
	v_mov_b32_e32 v160, v159
	v_add_f32_e32 v14, v14, v150
	v_fmac_f32_e32 v151, 0x3f65296c, v73
	v_add_f32_e32 v15, v15, v148
	v_fma_f32 v148, v43, s3, -v157
	v_fma_f32 v146, v30, s2, -v145
	v_add_f32_e32 v106, v106, v108
	v_add_f32_e32 v107, v41, v107
	v_fma_f32 v108, v29, s0, -v114
	v_add_f32_e32 v86, v86, v87
	v_fma_f32 v87, v28, s4, -v95
	v_mul_f32_e32 v96, 0xbf7ee86f, v76
	v_add_f32_e32 v20, v20, v59
	v_add_f32_e32 v0, v0, v19
	v_fma_f32 v19, v24, s2, -v138
	v_fmac_f32_e32 v160, 0xbe8c1d8e, v46
	v_mul_f32_e32 v161, 0x3dbcf732, v57
	v_add_f32_e32 v14, v14, v151
	v_fmac_f32_e32 v152, 0xbf763a35, v74
	v_add_f32_e32 v15, v15, v148
	v_fma_f32 v148, v44, s6, -v158
	v_add_f32_e32 v103, v103, v146
	v_mul_f32_e32 v146, 0xbf06c442, v78
	v_fmac_f32_e32 v109, 0x3eb8f4ab, v69
	v_add_f32_e32 v107, v107, v108
	v_fma_f32 v108, v30, s5, -v115
	v_add_f32_e32 v87, v41, v87
	v_fma_f32 v97, v29, s7, -v96
	v_add_f32_e32 v20, v20, v61
	v_add_f32_e32 v0, v0, v19
	v_fma_f32 v19, v25, s1, -v139
	v_add_f32_e32 v160, v13, v160
	v_mov_b32_e32 v13, v161
	v_mul_f32_e32 v162, 0x3f7ee86f, v83
	v_add_f32_e32 v14, v14, v152
	v_add_f32_e32 v15, v15, v148
	v_fma_f32 v148, v46, s5, -v159
	v_fmac_f32_e32 v161, 0x3f7ee86f, v82
	v_fma_f32 v147, v32, s1, -v146
	v_add_f32_e32 v106, v106, v109
	v_fmac_f32_e32 v110, 0xbf65296c, v68
	v_add_f32_e32 v107, v107, v108
	v_fma_f32 v108, v32, s2, -v116
	v_add_f32_e32 v87, v87, v97
	v_mul_f32_e32 v97, 0xbf4c4adb, v77
	v_add_f32_e32 v20, v20, v64
	v_add_f32_e32 v0, v0, v19
	v_fma_f32 v19, v26, s7, -v140
	v_add_f32_e32 v148, v15, v148
	v_add_f32_e32 v15, v14, v161
	v_fma_f32 v14, v52, s7, -v162
	v_add_f32_e32 v103, v103, v147
	v_mul_f32_e32 v147, 0x3f7ee86f, v79
	v_add_f32_e32 v106, v106, v110
	v_fmac_f32_e32 v111, 0xbf06c442, v73
	v_add_f32_e32 v107, v107, v108
	v_fma_f32 v108, v43, s6, -v117
	v_fma_f32 v98, v30, s3, -v97
	v_add_f32_e32 v20, v65, v20
	v_add_f32_e32 v0, v0, v19
	v_fma_f32 v19, v27, s4, -v141
	v_add_f32_e32 v14, v148, v14
	v_fma_f32 v148, v43, s7, -v147
	v_add_f32_e32 v106, v106, v111
	v_fmac_f32_e32 v112, 0x3f4c4adb, v74
	v_add_f32_e32 v107, v107, v108
	v_fma_f32 v108, v44, s1, -v118
	v_add_f32_e32 v87, v87, v98
	v_mul_f32_e32 v98, 0xbe3c28d5, v78
	v_add_f32_e32 v20, v60, v20
	v_add_f32_e32 v0, v0, v19
	v_fma_f32 v19, v21, s0, -v142
	v_fmac_f32_e32 v143, 0xbf1a4643, v28
	v_add_f32_e32 v103, v103, v148
	v_mul_f32_e32 v148, 0xbf2c7751, v80
	v_add_f32_e32 v106, v106, v112
	v_add_f32_e32 v107, v107, v108
	v_fma_f32 v108, v46, s3, -v119
	v_fmac_f32_e32 v120, 0x3f2c7751, v82
	v_fma_f32 v99, v32, s0, -v98
	v_add_f32_e32 v20, v58, v20
	v_add_f32_e32 v0, v0, v19
	;; [unrolled: 1-line block ×3, first 2 shown]
	v_fmac_f32_e32 v144, 0xbe8c1d8e, v29
	v_fma_f32 v149, v44, s4, -v148
	v_add_f32_e32 v108, v107, v108
	v_add_f32_e32 v107, v106, v120
	v_fma_f32 v106, v52, s4, -v121
	v_add_f32_e32 v87, v87, v99
	v_mul_f32_e32 v99, 0x3f06c442, v79
	v_add_f32_e32 v20, v54, v20
	v_add_f32_e32 v19, v19, v144
	v_fmac_f32_e32 v145, 0x3f6eb680, v30
	v_add_f32_e32 v103, v103, v149
	v_mul_f32_e32 v149, 0xbe3c28d5, v81
	v_add_f32_e32 v106, v108, v106
	v_fma_f32 v108, v43, s1, -v99
	v_add_f32_e32 v20, v50, v20
	v_add_f32_e32 v19, v19, v145
	v_fmac_f32_e32 v146, 0xbf59a7d5, v32
	v_fma_f32 v150, v46, s0, -v149
	v_mul_f32_e32 v151, 0x3f65296c, v82
	v_add_f32_e32 v87, v87, v108
	v_mul_f32_e32 v108, 0x3f763a35, v80
	v_add_f32_e32 v20, v47, v20
	v_add_f32_e32 v19, v19, v146
	v_fmac_f32_e32 v147, 0x3dbcf732, v43
	v_add_f32_e32 v150, v103, v150
	v_mov_b32_e32 v103, v151
	v_fma_f32 v109, v44, s5, -v108
	v_add_f32_e32 v20, v45, v20
	v_add_f32_e32 v19, v19, v147
	v_fmac_f32_e32 v148, 0x3f3d2fb0, v44
	v_fmac_f32_e32 v103, 0x3ee437d1, v57
	v_mul_f32_e32 v152, 0x3f65296c, v83
	v_add_f32_e32 v87, v87, v109
	v_mul_f32_e32 v109, 0x3f65296c, v81
	v_add_f32_e32 v33, v40, v20
	v_add_f32_e32 v19, v19, v148
	v_fmac_f32_e32 v149, 0xbf7ba420, v46
	v_fma_f32 v20, v57, s6, -v151
	v_add_f32_e32 v103, v102, v103
	v_fma_f32 v102, v52, s6, -v152
	v_fma_f32 v110, v46, s6, -v109
	v_mul_f32_e32 v111, 0x3eb8f4ab, v82
	v_add_f32_e32 v19, v19, v149
	v_add_f32_e32 v36, v0, v20
	v_fmac_f32_e32 v152, 0x3ee437d1, v52
	v_fma_f32 v0, v22, s4, -v88
	v_add_f32_e32 v110, v87, v110
	v_mov_b32_e32 v87, v111
	v_add_f32_e32 v35, v19, v152
	v_add_f32_e32 v0, v42, v0
	v_fma_f32 v19, v23, s7, -v89
	v_fmac_f32_e32 v87, 0x3f6eb680, v57
	v_mul_f32_e32 v112, 0x3eb8f4ab, v83
	v_add_f32_e32 v0, v0, v19
	v_fma_f32 v19, v24, s3, -v90
	v_fmac_f32_e32 v104, 0xbf763a35, v72
	v_add_f32_e32 v87, v86, v87
	v_fma_f32 v86, v52, s2, -v112
	v_mul_f32_e32 v72, 0xbeb8f4ab, v72
	v_add_f32_e32 v0, v0, v19
	v_fma_f32 v19, v25, s0, -v91
	v_fmac_f32_e32 v105, 0x3f06c442, v71
	v_add_f32_e32 v86, v110, v86
	v_mov_b32_e32 v110, v72
	v_mul_f32_e32 v71, 0xbf2c7751, v71
	v_add_f32_e32 v0, v0, v19
	v_fma_f32 v19, v26, s1, -v92
	v_fmac_f32_e32 v110, 0x3f6eb680, v22
	v_mov_b32_e32 v113, v71
	v_add_f32_e32 v0, v0, v19
	v_fma_f32 v19, v27, s5, -v93
	v_fmac_f32_e32 v122, 0x3f2c7751, v70
	v_add_f32_e32 v110, v42, v110
	v_fmac_f32_e32 v113, 0x3f3d2fb0, v23
	v_mul_f32_e32 v70, 0xbf65296c, v70
	v_add_f32_e32 v0, v0, v19
	v_fma_f32 v19, v21, s6, -v94
	v_fmac_f32_e32 v95, 0x3f3d2fb0, v28
	v_add_f32_e32 v110, v110, v113
	v_mov_b32_e32 v113, v70
	v_add_f32_e32 v0, v0, v19
	v_add_f32_e32 v19, v41, v95
	v_fmac_f32_e32 v96, 0x3dbcf732, v29
	v_fmac_f32_e32 v113, 0x3ee437d1, v24
	v_add_f32_e32 v19, v19, v96
	v_fmac_f32_e32 v97, 0xbf1a4643, v30
	v_add_f32_e32 v110, v110, v113
	v_mul_f32_e32 v113, 0xbf7ee86f, v69
	v_add_f32_e32 v19, v19, v97
	v_fma_f32 v20, v57, s2, -v111
	v_fmac_f32_e32 v98, 0xbf7ba420, v32
	v_fmac_f32_e32 v123, 0xbf65296c, v69
	v_mov_b32_e32 v69, v113
	v_add_f32_e32 v38, v0, v20
	v_add_f32_e32 v0, v19, v98
	v_fmac_f32_e32 v99, 0xbf59a7d5, v43
	v_fmac_f32_e32 v69, 0x3dbcf732, v25
	v_add_f32_e32 v0, v0, v99
	v_fmac_f32_e32 v108, 0xbe8c1d8e, v44
	v_add_f32_e32 v69, v110, v69
	v_mul_f32_e32 v110, 0xbf763a35, v68
	v_add_f32_e32 v0, v0, v108
	v_fmac_f32_e32 v109, 0x3ee437d1, v46
	v_fmac_f32_e32 v124, 0xbe3c28d5, v68
	v_mov_b32_e32 v68, v110
	v_add_f32_e32 v0, v0, v109
	v_fmac_f32_e32 v112, 0x3f6eb680, v52
	v_fmac_f32_e32 v125, 0x3f7ee86f, v73
	;; [unrolled: 1-line block ×3, first 2 shown]
	v_mul_f32_e32 v73, 0xbf4c4adb, v73
	v_add_f32_e32 v37, v0, v112
	v_fma_f32 v0, v22, s2, -v72
	v_add_f32_e32 v68, v69, v68
	v_mov_b32_e32 v69, v73
	v_add_f32_e32 v0, v42, v0
	v_fma_f32 v19, v23, s4, -v71
	v_fmac_f32_e32 v126, 0xbeb8f4ab, v74
	v_fmac_f32_e32 v69, 0xbf1a4643, v27
	v_mul_f32_e32 v74, 0xbf06c442, v74
	v_add_f32_e32 v0, v0, v19
	v_fma_f32 v19, v24, s6, -v70
	v_add_f32_e32 v68, v68, v69
	v_mov_b32_e32 v69, v74
	v_add_f32_e32 v0, v0, v19
	v_fma_f32 v19, v25, s7, -v113
	v_fmac_f32_e32 v69, 0xbf59a7d5, v21
	v_mul_f32_e32 v75, 0xbeb8f4ab, v75
	v_add_f32_e32 v0, v0, v19
	v_fma_f32 v19, v26, s5, -v110
	v_add_f32_e32 v68, v68, v69
	v_fma_f32 v69, v28, s2, -v75
	v_mul_f32_e32 v76, 0xbf2c7751, v76
	v_add_f32_e32 v0, v0, v19
	v_fma_f32 v19, v27, s3, -v73
	v_fmac_f32_e32 v13, 0xbf7ee86f, v82
	v_fmac_f32_e32 v134, 0xbf4c4adb, v82
	v_add_f32_e32 v69, v41, v69
	v_fma_f32 v114, v29, s4, -v76
	v_mul_f32_e32 v77, 0xbf65296c, v77
	v_mul_f32_e32 v82, 0xbe3c28d5, v82
	v_add_f32_e32 v0, v0, v19
	v_fma_f32 v19, v21, s1, -v74
	v_add_f32_e32 v69, v69, v114
	v_fma_f32 v114, v30, s6, -v77
	v_mul_f32_e32 v78, 0xbf7ee86f, v78
	v_add_f32_e32 v0, v0, v19
	v_fma_f32 v19, v57, s0, -v82
	v_fmac_f32_e32 v75, 0x3f6eb680, v28
	v_add_f32_e32 v69, v69, v114
	v_fma_f32 v114, v32, s7, -v78
	v_mul_f32_e32 v79, 0xbf763a35, v79
	v_add_f32_e32 v21, v0, v19
	v_add_f32_e32 v0, v41, v75
	v_fmac_f32_e32 v76, 0x3f3d2fb0, v29
	v_add_f32_e32 v69, v69, v114
	v_fma_f32 v114, v43, s5, -v79
	v_mul_f32_e32 v80, 0xbf4c4adb, v80
	v_add_f32_e32 v0, v0, v76
	v_fmac_f32_e32 v77, 0x3ee437d1, v30
	v_add_f32_e32 v69, v69, v114
	v_fma_f32 v114, v44, s3, -v80
	v_mul_f32_e32 v81, 0xbf06c442, v81
	v_add_f32_e32 v0, v0, v77
	v_fmac_f32_e32 v78, 0x3dbcf732, v32
	v_add_f32_e32 v69, v69, v114
	v_fma_f32 v114, v46, s1, -v81
	v_add_f32_e32 v0, v0, v78
	v_fmac_f32_e32 v79, 0xbe8c1d8e, v43
	v_add_f32_e32 v114, v69, v114
	v_mov_b32_e32 v69, v82
	v_add_f32_e32 v0, v0, v79
	v_fmac_f32_e32 v80, 0xbf1a4643, v44
	v_fmac_f32_e32 v69, 0xbf7ba420, v57
	v_mul_f32_e32 v83, 0xbe3c28d5, v83
	v_add_f32_e32 v0, v0, v80
	v_fmac_f32_e32 v81, 0xbf59a7d5, v46
	v_add_f32_e32 v104, v42, v104
	v_add_f32_e32 v69, v68, v69
	v_fma_f32 v68, v52, s0, -v83
	v_add_f32_e32 v0, v0, v81
	v_fmac_f32_e32 v83, 0xbf7ba420, v52
	v_add_f32_e32 v104, v104, v105
	v_fma_f32 v105, v28, s5, -v127
	v_add_f32_e32 v20, v0, v83
	v_mov_b32_e32 v0, s11
	v_add_co_u32_e32 v22, vcc, s10, v2
	v_add_f32_e32 v104, v104, v122
	v_add_f32_e32 v105, v41, v105
	v_fma_f32 v122, v29, s1, -v128
	v_addc_co_u32_e32 v0, vcc, v0, v3, vcc
	v_lshlrev_b64 v[2:3], 3, v[16:17]
	v_add_f32_e32 v105, v105, v122
	v_fma_f32 v122, v30, s4, -v129
	v_add_f32_e32 v104, v104, v123
	v_add_f32_e32 v105, v105, v122
	v_fma_f32 v122, v32, s6, -v130
	v_mov_b32_e32 v19, v1
	v_add_co_u32_e32 v16, vcc, v22, v2
	v_add_f32_e32 v104, v104, v124
	v_add_f32_e32 v105, v105, v122
	v_fma_f32 v122, v43, s0, -v131
	v_addc_co_u32_e32 v17, vcc, v0, v3, vcc
	v_lshlrev_b64 v[2:3], 3, v[18:19]
	v_add_f32_e32 v104, v104, v125
	v_add_f32_e32 v105, v105, v122
	v_fma_f32 v122, v44, s7, -v132
	v_add_f32_e32 v13, v12, v13
	v_mov_b32_e32 v12, v162
	v_add_f32_e32 v104, v104, v126
	v_add_f32_e32 v105, v105, v122
	v_fma_f32 v122, v46, s2, -v133
	v_add_co_u32_e32 v2, vcc, v16, v2
	v_fmac_f32_e32 v12, 0x3dbcf732, v52
	v_add_f32_e32 v122, v105, v122
	v_add_f32_e32 v105, v104, v134
	v_fma_f32 v104, v52, s3, -v135
	v_addc_co_u32_e32 v3, vcc, v17, v3, vcc
	s_movk_i32 s0, 0x1000
	v_or_b32_e32 v0, 0x340, v18
	v_add_f32_e32 v12, v160, v12
	v_add_f32_e32 v102, v150, v102
	v_add_f32_e32 v104, v122, v104
	v_add_f32_e32 v68, v114, v68
	global_store_dwordx2 v[2:3], v[33:34], off
	global_store_dwordx2 v[2:3], v[68:69], off offset:416
	global_store_dwordx2 v[2:3], v[86:87], off offset:832
	;; [unrolled: 1-line block ×9, first 2 shown]
	v_add_co_u32_e32 v2, vcc, s0, v2
	v_lshlrev_b64 v[0:1], 3, v[0:1]
	v_addc_co_u32_e32 v3, vcc, 0, v3, vcc
	v_add_co_u32_e32 v0, vcc, v16, v0
	v_addc_co_u32_e32 v1, vcc, v17, v1, vcc
	global_store_dwordx2 v[2:3], v[10:11], off offset:64
	global_store_dwordx2 v[2:3], v[35:36], off offset:480
	;; [unrolled: 1-line block ×6, first 2 shown]
	global_store_dwordx2 v[0:1], v[20:21], off
.LBB0_26:
	s_endpgm
	.section	.rodata,"a",@progbits
	.p2align	6, 0x0
	.amdhsa_kernel fft_rtc_fwd_len884_factors_13_4_17_wgs_204_tpt_68_halfLds_sp_op_CI_CI_unitstride_sbrr_dirReg
		.amdhsa_group_segment_fixed_size 0
		.amdhsa_private_segment_fixed_size 0
		.amdhsa_kernarg_size 104
		.amdhsa_user_sgpr_count 6
		.amdhsa_user_sgpr_private_segment_buffer 1
		.amdhsa_user_sgpr_dispatch_ptr 0
		.amdhsa_user_sgpr_queue_ptr 0
		.amdhsa_user_sgpr_kernarg_segment_ptr 1
		.amdhsa_user_sgpr_dispatch_id 0
		.amdhsa_user_sgpr_flat_scratch_init 0
		.amdhsa_user_sgpr_private_segment_size 0
		.amdhsa_uses_dynamic_stack 0
		.amdhsa_system_sgpr_private_segment_wavefront_offset 0
		.amdhsa_system_sgpr_workgroup_id_x 1
		.amdhsa_system_sgpr_workgroup_id_y 0
		.amdhsa_system_sgpr_workgroup_id_z 0
		.amdhsa_system_sgpr_workgroup_info 0
		.amdhsa_system_vgpr_workitem_id 0
		.amdhsa_next_free_vgpr 163
		.amdhsa_next_free_sgpr 28
		.amdhsa_reserve_vcc 1
		.amdhsa_reserve_flat_scratch 0
		.amdhsa_float_round_mode_32 0
		.amdhsa_float_round_mode_16_64 0
		.amdhsa_float_denorm_mode_32 3
		.amdhsa_float_denorm_mode_16_64 3
		.amdhsa_dx10_clamp 1
		.amdhsa_ieee_mode 1
		.amdhsa_fp16_overflow 0
		.amdhsa_exception_fp_ieee_invalid_op 0
		.amdhsa_exception_fp_denorm_src 0
		.amdhsa_exception_fp_ieee_div_zero 0
		.amdhsa_exception_fp_ieee_overflow 0
		.amdhsa_exception_fp_ieee_underflow 0
		.amdhsa_exception_fp_ieee_inexact 0
		.amdhsa_exception_int_div_zero 0
	.end_amdhsa_kernel
	.text
.Lfunc_end0:
	.size	fft_rtc_fwd_len884_factors_13_4_17_wgs_204_tpt_68_halfLds_sp_op_CI_CI_unitstride_sbrr_dirReg, .Lfunc_end0-fft_rtc_fwd_len884_factors_13_4_17_wgs_204_tpt_68_halfLds_sp_op_CI_CI_unitstride_sbrr_dirReg
                                        ; -- End function
	.section	.AMDGPU.csdata,"",@progbits
; Kernel info:
; codeLenInByte = 11808
; NumSgprs: 32
; NumVgprs: 163
; ScratchSize: 0
; MemoryBound: 0
; FloatMode: 240
; IeeeMode: 1
; LDSByteSize: 0 bytes/workgroup (compile time only)
; SGPRBlocks: 3
; VGPRBlocks: 40
; NumSGPRsForWavesPerEU: 32
; NumVGPRsForWavesPerEU: 163
; Occupancy: 1
; WaveLimiterHint : 1
; COMPUTE_PGM_RSRC2:SCRATCH_EN: 0
; COMPUTE_PGM_RSRC2:USER_SGPR: 6
; COMPUTE_PGM_RSRC2:TRAP_HANDLER: 0
; COMPUTE_PGM_RSRC2:TGID_X_EN: 1
; COMPUTE_PGM_RSRC2:TGID_Y_EN: 0
; COMPUTE_PGM_RSRC2:TGID_Z_EN: 0
; COMPUTE_PGM_RSRC2:TIDIG_COMP_CNT: 0
	.type	__hip_cuid_fb660379f7461436,@object ; @__hip_cuid_fb660379f7461436
	.section	.bss,"aw",@nobits
	.globl	__hip_cuid_fb660379f7461436
__hip_cuid_fb660379f7461436:
	.byte	0                               ; 0x0
	.size	__hip_cuid_fb660379f7461436, 1

	.ident	"AMD clang version 19.0.0git (https://github.com/RadeonOpenCompute/llvm-project roc-6.4.0 25133 c7fe45cf4b819c5991fe208aaa96edf142730f1d)"
	.section	".note.GNU-stack","",@progbits
	.addrsig
	.addrsig_sym __hip_cuid_fb660379f7461436
	.amdgpu_metadata
---
amdhsa.kernels:
  - .args:
      - .actual_access:  read_only
        .address_space:  global
        .offset:         0
        .size:           8
        .value_kind:     global_buffer
      - .offset:         8
        .size:           8
        .value_kind:     by_value
      - .actual_access:  read_only
        .address_space:  global
        .offset:         16
        .size:           8
        .value_kind:     global_buffer
      - .actual_access:  read_only
        .address_space:  global
        .offset:         24
        .size:           8
        .value_kind:     global_buffer
      - .actual_access:  read_only
        .address_space:  global
        .offset:         32
        .size:           8
        .value_kind:     global_buffer
      - .offset:         40
        .size:           8
        .value_kind:     by_value
      - .actual_access:  read_only
        .address_space:  global
        .offset:         48
        .size:           8
        .value_kind:     global_buffer
      - .actual_access:  read_only
        .address_space:  global
        .offset:         56
        .size:           8
        .value_kind:     global_buffer
      - .offset:         64
        .size:           4
        .value_kind:     by_value
      - .actual_access:  read_only
        .address_space:  global
        .offset:         72
        .size:           8
        .value_kind:     global_buffer
      - .actual_access:  read_only
        .address_space:  global
        .offset:         80
        .size:           8
        .value_kind:     global_buffer
      - .actual_access:  read_only
        .address_space:  global
        .offset:         88
        .size:           8
        .value_kind:     global_buffer
      - .actual_access:  write_only
        .address_space:  global
        .offset:         96
        .size:           8
        .value_kind:     global_buffer
    .group_segment_fixed_size: 0
    .kernarg_segment_align: 8
    .kernarg_segment_size: 104
    .language:       OpenCL C
    .language_version:
      - 2
      - 0
    .max_flat_workgroup_size: 204
    .name:           fft_rtc_fwd_len884_factors_13_4_17_wgs_204_tpt_68_halfLds_sp_op_CI_CI_unitstride_sbrr_dirReg
    .private_segment_fixed_size: 0
    .sgpr_count:     32
    .sgpr_spill_count: 0
    .symbol:         fft_rtc_fwd_len884_factors_13_4_17_wgs_204_tpt_68_halfLds_sp_op_CI_CI_unitstride_sbrr_dirReg.kd
    .uniform_work_group_size: 1
    .uses_dynamic_stack: false
    .vgpr_count:     163
    .vgpr_spill_count: 0
    .wavefront_size: 64
amdhsa.target:   amdgcn-amd-amdhsa--gfx906
amdhsa.version:
  - 1
  - 2
...

	.end_amdgpu_metadata
